;; amdgpu-corpus repo=ROCm/rocFFT kind=compiled arch=gfx950 opt=O3
	.text
	.amdgcn_target "amdgcn-amd-amdhsa--gfx950"
	.amdhsa_code_object_version 6
	.protected	fft_rtc_back_len3600_factors_10_10_6_6_wgs_120_tpt_120_halfLds_sp_ip_CI_unitstride_sbrr_dirReg ; -- Begin function fft_rtc_back_len3600_factors_10_10_6_6_wgs_120_tpt_120_halfLds_sp_ip_CI_unitstride_sbrr_dirReg
	.globl	fft_rtc_back_len3600_factors_10_10_6_6_wgs_120_tpt_120_halfLds_sp_ip_CI_unitstride_sbrr_dirReg
	.p2align	8
	.type	fft_rtc_back_len3600_factors_10_10_6_6_wgs_120_tpt_120_halfLds_sp_ip_CI_unitstride_sbrr_dirReg,@function
fft_rtc_back_len3600_factors_10_10_6_6_wgs_120_tpt_120_halfLds_sp_ip_CI_unitstride_sbrr_dirReg: ; @fft_rtc_back_len3600_factors_10_10_6_6_wgs_120_tpt_120_halfLds_sp_ip_CI_unitstride_sbrr_dirReg
; %bb.0:
	s_load_dwordx2 s[8:9], s[0:1], 0x50
	s_load_dwordx4 s[4:7], s[0:1], 0x0
	s_load_dwordx2 s[10:11], s[0:1], 0x18
	v_mul_u32_u24_e32 v1, 0x223, v0
	v_add_u32_sdwa v6, s2, v1 dst_sel:DWORD dst_unused:UNUSED_PAD src0_sel:DWORD src1_sel:WORD_1
	v_mov_b32_e32 v4, 0
	s_waitcnt lgkmcnt(0)
	v_cmp_lt_u64_e64 s[2:3], s[6:7], 2
	v_mov_b32_e32 v7, v4
	s_and_b64 vcc, exec, s[2:3]
	v_mov_b64_e32 v[2:3], 0
	s_cbranch_vccnz .LBB0_8
; %bb.1:
	s_load_dwordx2 s[2:3], s[0:1], 0x10
	s_add_u32 s12, s10, 8
	s_addc_u32 s13, s11, 0
	s_mov_b64 s[14:15], 1
	v_mov_b64_e32 v[2:3], 0
	s_waitcnt lgkmcnt(0)
	s_add_u32 s16, s2, 8
	s_addc_u32 s17, s3, 0
.LBB0_2:                                ; =>This Inner Loop Header: Depth=1
	s_load_dwordx2 s[18:19], s[16:17], 0x0
                                        ; implicit-def: $vgpr8_vgpr9
	s_waitcnt lgkmcnt(0)
	v_or_b32_e32 v5, s19, v7
	v_cmp_ne_u64_e32 vcc, 0, v[4:5]
	s_and_saveexec_b64 s[2:3], vcc
	s_xor_b64 s[20:21], exec, s[2:3]
	s_cbranch_execz .LBB0_4
; %bb.3:                                ;   in Loop: Header=BB0_2 Depth=1
	v_cvt_f32_u32_e32 v1, s18
	v_cvt_f32_u32_e32 v5, s19
	s_sub_u32 s2, 0, s18
	s_subb_u32 s3, 0, s19
	v_fmac_f32_e32 v1, 0x4f800000, v5
	v_rcp_f32_e32 v1, v1
	s_nop 0
	v_mul_f32_e32 v1, 0x5f7ffffc, v1
	v_mul_f32_e32 v5, 0x2f800000, v1
	v_trunc_f32_e32 v5, v5
	v_fmac_f32_e32 v1, 0xcf800000, v5
	v_cvt_u32_f32_e32 v5, v5
	v_cvt_u32_f32_e32 v1, v1
	v_mul_lo_u32 v8, s2, v5
	v_mul_hi_u32 v10, s2, v1
	v_mul_lo_u32 v9, s3, v1
	v_add_u32_e32 v10, v10, v8
	v_mul_lo_u32 v12, s2, v1
	v_add_u32_e32 v13, v10, v9
	v_mul_hi_u32 v8, v1, v12
	v_mul_hi_u32 v11, v1, v13
	v_mul_lo_u32 v10, v1, v13
	v_mov_b32_e32 v9, v4
	v_lshl_add_u64 v[8:9], v[8:9], 0, v[10:11]
	v_mul_hi_u32 v11, v5, v12
	v_mul_lo_u32 v12, v5, v12
	v_add_co_u32_e32 v8, vcc, v8, v12
	v_mul_hi_u32 v10, v5, v13
	s_nop 0
	v_addc_co_u32_e32 v8, vcc, v9, v11, vcc
	v_mov_b32_e32 v9, v4
	s_nop 0
	v_addc_co_u32_e32 v11, vcc, 0, v10, vcc
	v_mul_lo_u32 v10, v5, v13
	v_lshl_add_u64 v[8:9], v[8:9], 0, v[10:11]
	v_add_co_u32_e32 v1, vcc, v1, v8
	v_mul_lo_u32 v10, s2, v1
	s_nop 0
	v_addc_co_u32_e32 v5, vcc, v5, v9, vcc
	v_mul_lo_u32 v8, s2, v5
	v_mul_hi_u32 v9, s2, v1
	v_add_u32_e32 v8, v9, v8
	v_mul_lo_u32 v9, s3, v1
	v_add_u32_e32 v12, v8, v9
	v_mul_hi_u32 v14, v5, v10
	v_mul_lo_u32 v15, v5, v10
	v_mul_hi_u32 v9, v1, v12
	v_mul_lo_u32 v8, v1, v12
	v_mul_hi_u32 v10, v1, v10
	v_mov_b32_e32 v11, v4
	v_lshl_add_u64 v[8:9], v[10:11], 0, v[8:9]
	v_add_co_u32_e32 v8, vcc, v8, v15
	v_mul_hi_u32 v13, v5, v12
	s_nop 0
	v_addc_co_u32_e32 v8, vcc, v9, v14, vcc
	v_mul_lo_u32 v10, v5, v12
	s_nop 0
	v_addc_co_u32_e32 v11, vcc, 0, v13, vcc
	v_mov_b32_e32 v9, v4
	v_lshl_add_u64 v[8:9], v[8:9], 0, v[10:11]
	v_add_co_u32_e32 v1, vcc, v1, v8
	v_mul_hi_u32 v10, v6, v1
	s_nop 0
	v_addc_co_u32_e32 v5, vcc, v5, v9, vcc
	v_mad_u64_u32 v[8:9], s[2:3], v6, v5, 0
	v_mov_b32_e32 v11, v4
	v_lshl_add_u64 v[8:9], v[10:11], 0, v[8:9]
	v_mad_u64_u32 v[12:13], s[2:3], v7, v1, 0
	v_add_co_u32_e32 v1, vcc, v8, v12
	v_mad_u64_u32 v[10:11], s[2:3], v7, v5, 0
	s_nop 0
	v_addc_co_u32_e32 v8, vcc, v9, v13, vcc
	v_mov_b32_e32 v9, v4
	s_nop 0
	v_addc_co_u32_e32 v11, vcc, 0, v11, vcc
	v_lshl_add_u64 v[8:9], v[8:9], 0, v[10:11]
	v_mul_lo_u32 v1, s19, v8
	v_mul_lo_u32 v5, s18, v9
	v_mad_u64_u32 v[10:11], s[2:3], s18, v8, 0
	v_add3_u32 v1, v11, v5, v1
	v_sub_u32_e32 v5, v7, v1
	v_mov_b32_e32 v11, s19
	v_sub_co_u32_e32 v14, vcc, v6, v10
	v_lshl_add_u64 v[12:13], v[8:9], 0, 1
	s_nop 0
	v_subb_co_u32_e64 v5, s[2:3], v5, v11, vcc
	v_subrev_co_u32_e64 v10, s[2:3], s18, v14
	v_subb_co_u32_e32 v1, vcc, v7, v1, vcc
	s_nop 0
	v_subbrev_co_u32_e64 v5, s[2:3], 0, v5, s[2:3]
	v_cmp_le_u32_e64 s[2:3], s19, v5
	v_cmp_le_u32_e32 vcc, s19, v1
	s_nop 0
	v_cndmask_b32_e64 v11, 0, -1, s[2:3]
	v_cmp_le_u32_e64 s[2:3], s18, v10
	s_nop 1
	v_cndmask_b32_e64 v10, 0, -1, s[2:3]
	v_cmp_eq_u32_e64 s[2:3], s19, v5
	s_nop 1
	v_cndmask_b32_e64 v5, v11, v10, s[2:3]
	v_lshl_add_u64 v[10:11], v[8:9], 0, 2
	v_cmp_ne_u32_e64 s[2:3], 0, v5
	s_nop 1
	v_cndmask_b32_e64 v5, v13, v11, s[2:3]
	v_cndmask_b32_e64 v11, 0, -1, vcc
	v_cmp_le_u32_e32 vcc, s18, v14
	s_nop 1
	v_cndmask_b32_e64 v13, 0, -1, vcc
	v_cmp_eq_u32_e32 vcc, s19, v1
	s_nop 1
	v_cndmask_b32_e32 v1, v11, v13, vcc
	v_cmp_ne_u32_e32 vcc, 0, v1
	v_cndmask_b32_e64 v1, v12, v10, s[2:3]
	s_nop 0
	v_cndmask_b32_e32 v9, v9, v5, vcc
	v_cndmask_b32_e32 v8, v8, v1, vcc
.LBB0_4:                                ;   in Loop: Header=BB0_2 Depth=1
	s_andn2_saveexec_b64 s[2:3], s[20:21]
	s_cbranch_execz .LBB0_6
; %bb.5:                                ;   in Loop: Header=BB0_2 Depth=1
	v_cvt_f32_u32_e32 v1, s18
	s_sub_i32 s20, 0, s18
	v_rcp_iflag_f32_e32 v1, v1
	s_nop 0
	v_mul_f32_e32 v1, 0x4f7ffffe, v1
	v_cvt_u32_f32_e32 v1, v1
	v_mul_lo_u32 v5, s20, v1
	v_mul_hi_u32 v5, v1, v5
	v_add_u32_e32 v1, v1, v5
	v_mul_hi_u32 v1, v6, v1
	v_mul_lo_u32 v5, v1, s18
	v_sub_u32_e32 v5, v6, v5
	v_add_u32_e32 v8, 1, v1
	v_subrev_u32_e32 v9, s18, v5
	v_cmp_le_u32_e32 vcc, s18, v5
	s_nop 1
	v_cndmask_b32_e32 v5, v5, v9, vcc
	v_cndmask_b32_e32 v1, v1, v8, vcc
	v_add_u32_e32 v8, 1, v1
	v_cmp_le_u32_e32 vcc, s18, v5
	v_mov_b32_e32 v9, v4
	s_nop 0
	v_cndmask_b32_e32 v8, v1, v8, vcc
.LBB0_6:                                ;   in Loop: Header=BB0_2 Depth=1
	s_or_b64 exec, exec, s[2:3]
	v_mad_u64_u32 v[10:11], s[2:3], v8, s18, 0
	s_load_dwordx2 s[2:3], s[12:13], 0x0
	v_mul_lo_u32 v1, v9, s18
	v_mul_lo_u32 v5, v8, s19
	v_add3_u32 v1, v11, v5, v1
	v_sub_co_u32_e32 v5, vcc, v6, v10
	s_add_u32 s14, s14, 1
	s_nop 0
	v_subb_co_u32_e32 v1, vcc, v7, v1, vcc
	s_addc_u32 s15, s15, 0
	s_waitcnt lgkmcnt(0)
	v_mul_lo_u32 v1, s2, v1
	v_mul_lo_u32 v6, s3, v5
	v_mad_u64_u32 v[2:3], s[2:3], s2, v5, v[2:3]
	s_add_u32 s12, s12, 8
	v_add3_u32 v3, v6, v3, v1
	s_addc_u32 s13, s13, 0
	v_mov_b64_e32 v[6:7], s[6:7]
	s_add_u32 s16, s16, 8
	v_cmp_ge_u64_e32 vcc, s[14:15], v[6:7]
	s_addc_u32 s17, s17, 0
	s_cbranch_vccnz .LBB0_9
; %bb.7:                                ;   in Loop: Header=BB0_2 Depth=1
	v_mov_b64_e32 v[6:7], v[8:9]
	s_branch .LBB0_2
.LBB0_8:
	v_mov_b64_e32 v[8:9], v[6:7]
.LBB0_9:
	s_lshl_b64 s[2:3], s[6:7], 3
	s_add_u32 s2, s10, s2
	s_addc_u32 s3, s11, s3
	s_load_dwordx2 s[6:7], s[2:3], 0x0
	s_load_dwordx2 s[10:11], s[0:1], 0x20
	s_mov_b32 s2, 0x2222223
                                        ; implicit-def: $vgpr12
                                        ; implicit-def: $vgpr60
                                        ; implicit-def: $vgpr40
                                        ; implicit-def: $vgpr88
                                        ; implicit-def: $vgpr22
                                        ; implicit-def: $vgpr54
                                        ; implicit-def: $vgpr20
                                        ; implicit-def: $vgpr34
                                        ; implicit-def: $vgpr98
                                        ; implicit-def: $vgpr96
                                        ; implicit-def: $vgpr100
                                        ; implicit-def: $vgpr36
                                        ; implicit-def: $vgpr64
                                        ; implicit-def: $vgpr66
                                        ; implicit-def: $vgpr70
                                        ; implicit-def: $vgpr68
                                        ; implicit-def: $vgpr14
                                        ; implicit-def: $vgpr42
                                        ; implicit-def: $vgpr38
                                        ; implicit-def: $vgpr46
                                        ; implicit-def: $vgpr48
                                        ; implicit-def: $vgpr6
                                        ; implicit-def: $vgpr28
                                        ; implicit-def: $vgpr18
                                        ; implicit-def: $vgpr44
                                        ; implicit-def: $vgpr26
                                        ; implicit-def: $vgpr50
                                        ; implicit-def: $vgpr30
                                        ; implicit-def: $vgpr74
                                        ; implicit-def: $vgpr16
                                        ; implicit-def: $vgpr24
                                        ; implicit-def: $vgpr32
                                        ; implicit-def: $vgpr102
	s_waitcnt lgkmcnt(0)
	v_mul_lo_u32 v1, s6, v9
	v_mul_lo_u32 v4, s7, v8
	v_mad_u64_u32 v[2:3], s[0:1], s6, v8, v[2:3]
	v_add3_u32 v3, v4, v3, v1
	v_mul_hi_u32 v1, v0, s2
	v_mul_u32_u24_e32 v1, 0x78, v1
	v_cmp_gt_u64_e64 s[0:1], s[10:11], v[8:9]
	v_sub_u32_e32 v8, v0, v1
	v_lshl_add_u64 v[10:11], v[2:3], 3, s[8:9]
                                        ; implicit-def: $vgpr0
                                        ; implicit-def: $vgpr2
                                        ; implicit-def: $vgpr4
	s_and_saveexec_b64 s[2:3], s[0:1]
	s_cbranch_execz .LBB0_11
; %bb.10:
	v_mov_b32_e32 v9, 0
	v_lshl_add_u64 v[2:3], v[8:9], 3, v[10:11]
	v_add_co_u32_e32 v12, vcc, 0x1000, v2
	v_or_b32_e32 v0, 0x780, v8
	s_nop 0
	v_addc_co_u32_e32 v13, vcc, 0, v3, vcc
	v_add_co_u32_e32 v4, vcc, 0x2000, v2
	global_load_dwordx2 v[54:55], v[2:3], off
	global_load_dwordx2 v[88:89], v[2:3], off offset:960
	global_load_dwordx2 v[24:25], v[12:13], off offset:1664
	;; [unrolled: 1-line block ×3, first 2 shown]
	v_addc_co_u32_e32 v5, vcc, 0, v3, vcc
	v_add_co_u32_e32 v14, vcc, 0x4000, v2
	v_mov_b32_e32 v1, v9
	s_nop 0
	v_addc_co_u32_e32 v15, vcc, 0, v3, vcc
	v_add_co_u32_e32 v18, vcc, 0x5000, v2
	v_lshl_add_u64 v[36:37], v[0:1], 3, v[10:11]
	s_nop 0
	v_addc_co_u32_e32 v19, vcc, 0, v3, vcc
	v_add_co_u32_e32 v20, vcc, 0x3000, v2
	s_waitcnt vmcnt(0)
	v_mov_b32_e32 v40, v51
	v_addc_co_u32_e32 v21, vcc, 0, v3, vcc
	v_add_co_u32_e32 v22, vcc, 0x6000, v2
	s_nop 1
	v_addc_co_u32_e32 v23, vcc, 0, v3, vcc
	global_load_dwordx2 v[96:97], v[20:21], off offset:2112
	global_load_dwordx2 v[44:45], v[20:21], off offset:1152
	;; [unrolled: 1-line block ×15, first 2 shown]
                                        ; kill: killed $vgpr2 killed $vgpr3
                                        ; kill: killed $vgpr4 killed $vgpr5
	global_load_dwordx2 v[30:31], v[14:15], off offset:1856
	s_nop 0
	global_load_dwordx2 v[4:5], v[14:15], off offset:2816
	global_load_dwordx2 v[48:49], v[12:13], off offset:704
	;; [unrolled: 1-line block ×8, first 2 shown]
	global_load_dwordx2 v[70:71], v[36:37], off
	global_load_dwordx2 v[38:39], v[22:23], off offset:3264
	v_mov_b32_e32 v21, v55
	v_mov_b32_e32 v37, v89
	;; [unrolled: 1-line block ×3, first 2 shown]
	s_waitcnt vmcnt(17)
	v_mov_b32_e32 v15, v61
	s_waitcnt vmcnt(16)
	v_mov_b32_e32 v36, v29
	;; [unrolled: 2-line block ×4, first 2 shown]
	v_mov_b32_e32 v7, v24
	v_mov_b32_e32 v29, v50
	s_waitcnt vmcnt(13)
	v_mov_b32_e32 v1, v52
	v_mov_b32_e32 v12, v53
	;; [unrolled: 1-line block ×3, first 2 shown]
	s_waitcnt vmcnt(5)
	v_mov_b32_e32 v18, v3
	s_waitcnt vmcnt(3)
	v_mov_b32_e32 v24, v17
.LBB0_11:
	s_or_b64 exec, exec, s[2:3]
	s_mov_b32 s2, 0x3f737871
	v_mov_b32_e32 v23, v103
	v_mov_b32_e32 v25, v33
	s_mov_b32 s3, 0x3f167918
	v_pk_add_f32 v[52:53], v[32:33], v[102:103]
	v_add_f32_e32 v9, v16, v7
	s_mov_b32 s10, s3
	s_mov_b32 s11, s2
	v_pk_add_f32 v[110:111], v[22:23], v[24:25] neg_lo:[0,1] neg_hi:[0,1]
	v_add_f32_e32 v61, v7, v54
	v_fma_f32 v89, -0.5, v52, v54
	v_fmac_f32_e32 v54, -0.5, v9
	v_pk_mul_f32 v[56:57], v[110:111], s[10:11]
	v_mov_b32_e32 v25, v22
	v_add_f32_e32 v9, v57, v54
	v_sub_f32_e32 v13, v54, v57
	v_mov_b32_e32 v54, v33
	v_mov_b32_e32 v55, v103
	v_sub_f32_e32 v72, v9, v56
	v_add_f32_e32 v73, v56, v13
	v_pk_add_f32 v[56:57], v[24:25], v[54:55] neg_lo:[0,1] neg_hi:[0,1]
	v_mov_b32_e32 v59, v32
	v_mov_b32_e32 v58, v57
	;; [unrolled: 1-line block ×5, first 2 shown]
	v_pk_add_f32 v[84:85], v[56:57], v[58:59]
	v_pk_add_f32 v[56:57], v[8:9], v[58:59] neg_lo:[0,1] neg_hi:[0,1]
	v_mov_b32_e32 v58, v98
	v_mov_b32_e32 v59, v6
	;; [unrolled: 1-line block ×4, first 2 shown]
	v_pk_add_f32 v[104:105], v[40:41], v[50:51] neg_lo:[0,1] neg_hi:[0,1]
	v_mov_b32_e32 v51, v40
	v_mov_b32_e32 v76, v31
	;; [unrolled: 1-line block ×3, first 2 shown]
	v_pk_add_f32 v[82:83], v[58:59], v[62:63] neg_lo:[0,1] neg_hi:[0,1]
	v_pk_add_f32 v[58:59], v[50:51], v[76:77] neg_lo:[0,1] neg_hi:[0,1]
	v_mov_b32_e32 v63, v30
	v_mov_b32_e32 v62, v59
	;; [unrolled: 1-line block ×4, first 2 shown]
	v_pk_add_f32 v[86:87], v[58:59], v[62:63]
	v_mov_b32_e32 v9, v74
	v_pk_add_f32 v[94:95], v[12:13], v[18:19] neg_lo:[0,1] neg_hi:[0,1]
	v_mov_b32_e32 v19, v12
	v_mov_b32_e32 v58, v5
	v_mov_b32_e32 v59, v45
	v_pk_add_f32 v[80:81], v[8:9], v[62:63] neg_lo:[0,1] neg_hi:[0,1]
	v_pk_add_f32 v[62:63], v[18:19], v[58:59] neg_lo:[0,1] neg_hi:[0,1]
	v_mov_b32_e32 v79, v4
	v_mov_b32_e32 v78, v63
	;; [unrolled: 1-line block ×3, first 2 shown]
	v_pk_add_f32 v[90:91], v[62:63], v[78:79]
	v_pk_add_f32 v[62:63], v[8:9], v[78:79] neg_lo:[0,1] neg_hi:[0,1]
	v_mov_b32_e32 v78, v6
	v_mov_b32_e32 v79, v20
	v_pk_add_f32 v[92:93], v[34:35], v[98:99] neg_lo:[0,1] neg_hi:[0,1]
	v_pk_add_f32 v[106:107], v[96:97], v[78:79] neg_lo:[0,1] neg_hi:[0,1]
	;; [unrolled: 1-line block ×3, first 2 shown]
	v_pk_add_f32 v[92:93], v[92:93], v[106:107]
	v_pk_add_f32 v[106:107], v[98:99], v[78:79]
	v_pk_mul_f32 v[112:113], v[108:109], s[2:3] op_sel_hi:[1,0]
	v_pk_fma_f32 v[106:107], v[106:107], 0.5, v[100:101] op_sel_hi:[1,0,1] neg_lo:[1,0,0] neg_hi:[1,0,0]
	s_mov_b32 s12, s3
	v_pk_add_f32 v[114:115], v[106:107], v[112:113] op_sel:[0,1] op_sel_hi:[1,0] neg_lo:[0,1] neg_hi:[0,1]
	v_pk_add_f32 v[106:107], v[112:113], v[106:107] op_sel:[1,0] op_sel_hi:[0,1]
	v_pk_add_f32 v[112:113], v[78:79], v[98:99] neg_lo:[0,1] neg_hi:[0,1]
	s_mov_b32 s8, 0x3e9e377a
	v_pk_mul_f32 v[78:79], v[112:113], s[12:13] op_sel_hi:[1,0]
	s_mov_b32 s9, s3
	v_pk_add_f32 v[114:115], v[78:79], v[114:115] op_sel:[1,0] op_sel_hi:[0,1]
	v_pk_add_f32 v[106:107], v[106:107], v[78:79] op_sel:[0,1] op_sel_hi:[1,0] neg_lo:[0,1] neg_hi:[0,1]
	v_mov_b32_e32 v9, v20
	v_pk_fma_f32 v[78:79], v[92:93], s[8:9], v[114:115] op_sel_hi:[1,0,1]
	v_pk_fma_f32 v[114:115], v[92:93], s[8:9], v[106:107] op_sel_hi:[1,0,1]
	v_pk_add_f32 v[92:93], v[8:9], v[96:97] neg_lo:[0,1] neg_hi:[0,1]
	v_pk_add_f32 v[106:107], v[98:99], v[34:35] neg_lo:[0,1] neg_hi:[0,1]
	v_mov_b32_e32 v92, v83
	v_mov_b32_e32 v106, v82
	v_pk_add_f32 v[82:83], v[106:107], v[92:93]
	v_pk_add_f32 v[92:93], v[34:35], v[96:97]
	v_pk_mul_f32 v[106:107], v[112:113], s[2:3] op_sel_hi:[1,0]
	v_pk_fma_f32 v[92:93], v[92:93], 0.5, v[100:101] op_sel_hi:[1,0,1] neg_lo:[1,0,0] neg_hi:[1,0,0]
	v_pk_mul_f32 v[118:119], v[82:83], s[8:9] op_sel_hi:[1,0]
	v_pk_add_f32 v[112:113], v[92:93], v[106:107] op_sel:[0,1] op_sel_hi:[1,0] neg_lo:[0,1] neg_hi:[0,1]
	v_pk_add_f32 v[92:93], v[106:107], v[92:93] op_sel:[1,0] op_sel_hi:[0,1]
	v_pk_mul_f32 v[106:107], v[108:109], s[12:13] op_sel_hi:[1,0]
	v_pk_add_f32 v[120:121], v[16:17], v[32:33] neg_lo:[0,1] neg_hi:[0,1]
	v_pk_add_f32 v[116:117], v[112:113], v[106:107] op_sel:[0,1] op_sel_hi:[1,0] neg_lo:[0,1] neg_hi:[0,1]
	v_pk_add_f32 v[92:93], v[106:107], v[92:93] op_sel:[1,0] op_sel_hi:[0,1]
	v_add_f32_e32 v112, v119, v93
	v_mov_b32_e32 v93, v117
	v_pk_fma_f32 v[82:83], v[82:83], s[8:9], v[92:93] op_sel_hi:[1,0,1]
	v_mov_b32_e32 v92, v32
	v_mov_b32_e32 v93, v102
	;; [unrolled: 1-line block ×3, first 2 shown]
	v_pk_add_f32 v[92:93], v[92:93], v[16:17] neg_lo:[0,1] neg_hi:[0,1]
	v_mov_b32_e32 v87, v81
	v_add_f32_e32 v9, v92, v93
	v_mul_f32_e32 v52, 0x3e9e377a, v9
	v_mov_b32_e32 v91, v63
	s_mov_b32 s6, s2
	s_mov_b32 s7, s8
	v_pk_add_f32 v[106:107], v[52:53], v[72:73] op_sel_hi:[0,1]
	v_pk_mul_f32 v[92:93], v[86:87], s[8:9]
	v_pk_mul_f32 v[72:73], v[90:91], s[8:9]
	v_mov_b32_e32 v90, v114
	v_pk_mul_f32 v[86:87], v[114:115], s[6:7]
	v_mov_b32_e32 v114, v79
	v_mov_b32_e32 v56, v101
	;; [unrolled: 1-line block ×4, first 2 shown]
	v_pk_mul_f32 v[108:109], v[114:115], s[2:3] op_sel_hi:[1,0]
	v_mov_b32_e32 v114, v103
	v_add_f32_e32 v9, v102, v61
	v_pk_add_f32 v[102:103], v[6:7], v[100:101]
	v_pk_add_f32 v[100:101], v[6:7], v[100:101] neg_lo:[0,1] neg_hi:[0,1]
	v_mov_b32_e32 v6, v97
	v_mov_b32_e32 v103, v101
	v_mov_b32_e32 v97, v120
	v_mov_b32_e32 v85, v57
	v_pk_add_f32 v[100:101], v[96:97], v[102:103]
	v_pk_mul_f32 v[102:103], v[110:111], s[2:3]
	v_pk_mul_f32 v[84:85], v[84:85], s[8:9]
	v_mov_b32_e32 v91, v78
	s_mov_b32 s9, 0xbe9e377a
	v_sub_f32_e32 v13, v89, v102
	v_mov_b32_e32 v96, v35
	v_mov_b32_e32 v35, 0x3e9e377a
	v_pk_fma_f32 v[108:109], v[90:91], s[8:9], v[108:109] neg_lo:[0,0,1] neg_hi:[0,0,1]
	v_mov_b32_e32 v91, v116
	v_add_f32_e32 v90, v22, v21
	v_mov_b32_e32 v115, v118
	v_sub_f32_e32 v13, v13, v103
	v_pk_add_f32 v[110:111], v[34:35], v[100:101]
	v_pk_mul_f32 v[100:101], v[34:35], v[100:101]
	v_pk_add_f32 v[90:91], v[114:115], v[90:91]
	v_mov_b32_e32 v80, v99
	v_mov_b32_e32 v99, v13
	;; [unrolled: 1-line block ×3, first 2 shown]
	v_pk_add_f32 v[98:99], v[98:99], v[110:111]
	v_mul_f32_e32 v17, 0x3f167918, v112
	v_add_f32_e32 v110, v32, v9
	v_mul_f32_e32 v111, 0x3f4f1bbd, v91
	v_add_f32_e32 v9, v102, v89
	v_pk_add_f32 v[114:115], v[110:111], v[16:17]
	v_pk_add_f32 v[110:111], v[110:111], v[16:17] neg_lo:[0,1] neg_hi:[0,1]
	v_add_f32_e32 v9, v103, v9
	s_mov_b32 s14, 0xbf4f1bbd
	s_mov_b32 s15, s3
	v_mov_b32_e32 v110, v114
	v_add_f32_e32 v62, v101, v9
	v_pk_mul_f32 v[100:101], v[82:83], s[14:15]
	v_pk_add_f32 v[120:121], v[98:99], v[110:111]
	v_pk_add_f32 v[102:103], v[114:115], v[98:99] neg_lo:[0,1] neg_hi:[0,1]
	v_mov_b32_e32 v98, v99
	v_mov_b32_e32 v99, v106
	;; [unrolled: 1-line block ×5, first 2 shown]
	v_pk_add_f32 v[98:99], v[98:99], v[110:111] neg_lo:[0,1] neg_hi:[0,1]
	v_pk_fma_f32 v[110:111], v[82:83], s[14:15], v[32:33] neg_lo:[0,0,1] neg_hi:[0,0,1]
	v_mad_u32_u24 v116, v8, 40, 0
	v_pk_add_f32 v[100:101], v[62:63], v[110:111]
	v_add_f32_e32 v9, v26, v29
	v_mov_b32_e32 v101, v102
	ds_write2_b64 v116, v[100:101], v[98:99] offset0:2 offset1:3
	v_pk_add_f32 v[98:99], v[30:31], v[74:75]
	v_add_f32_e32 v13, v29, v88
	v_fma_f32 v17, -0.5, v98, v88
	v_fmac_f32_e32 v88, -0.5, v9
	v_pk_mul_f32 v[100:101], v[104:105], s[10:11]
	v_mov_b32_e32 v89, v28
	v_add_f32_e32 v9, v101, v88
	v_sub_f32_e32 v23, v88, v101
	v_sub_f32_e32 v102, v9, v100
	v_add_f32_e32 v103, v100, v23
	v_mov_b32_e32 v88, v66
	v_mov_b32_e32 v100, v64
	s_waitcnt vmcnt(1)
	v_mov_b32_e32 v101, v70
	v_pk_add_f32 v[118:119], v[106:107], v[108:109]
	v_pk_add_f32 v[100:101], v[88:89], v[100:101] neg_lo:[0,1] neg_hi:[0,1]
	v_mov_b32_e32 v88, v28
	v_mov_b32_e32 v89, v36
	ds_write2_b64 v116, v[120:121], v[118:119] offset1:1
	v_pk_add_f32 v[114:115], v[64:65], v[66:67] neg_lo:[0,1] neg_hi:[0,1]
	v_pk_add_f32 v[118:119], v[70:71], v[88:89] neg_lo:[0,1] neg_hi:[0,1]
	;; [unrolled: 1-line block ×3, first 2 shown]
	v_pk_add_f32 v[114:115], v[114:115], v[118:119]
	v_pk_add_f32 v[118:119], v[66:67], v[88:89]
	v_pk_mul_f32 v[122:123], v[120:121], s[2:3] op_sel_hi:[1,0]
	v_pk_fma_f32 v[118:119], v[118:119], 0.5, v[68:69] op_sel_hi:[1,0,1] neg_lo:[1,0,0] neg_hi:[1,0,0]
	v_mov_b32_e32 v9, v36
	v_pk_add_f32 v[124:125], v[118:119], v[122:123] op_sel:[0,1] op_sel_hi:[1,0] neg_lo:[0,1] neg_hi:[0,1]
	v_pk_add_f32 v[118:119], v[122:123], v[118:119] op_sel:[1,0] op_sel_hi:[0,1]
	v_pk_add_f32 v[122:123], v[88:89], v[66:67] neg_lo:[0,1] neg_hi:[0,1]
	v_pk_mul_f32 v[120:121], v[120:121], s[12:13] op_sel_hi:[1,0]
	v_pk_mul_f32 v[88:89], v[122:123], s[12:13] op_sel_hi:[1,0]
	;; [unrolled: 1-line block ×3, first 2 shown]
	v_pk_add_f32 v[124:125], v[88:89], v[124:125] op_sel:[1,0] op_sel_hi:[0,1]
	v_pk_add_f32 v[118:119], v[118:119], v[88:89] op_sel:[0,1] op_sel_hi:[1,0] neg_lo:[0,1] neg_hi:[0,1]
	v_pk_fma_f32 v[88:89], v[114:115], s[8:9], v[124:125] op_sel_hi:[1,0,1]
	v_pk_fma_f32 v[114:115], v[114:115], s[8:9], v[118:119] op_sel_hi:[1,0,1]
	v_pk_add_f32 v[118:119], v[8:9], v[70:71] neg_lo:[0,1] neg_hi:[0,1]
	v_pk_add_f32 v[124:125], v[66:67], v[64:65] neg_lo:[0,1] neg_hi:[0,1]
	v_mov_b32_e32 v118, v101
	v_mov_b32_e32 v124, v100
	v_pk_add_f32 v[100:101], v[64:65], v[70:71]
	v_pk_add_f32 v[118:119], v[124:125], v[118:119]
	v_pk_fma_f32 v[100:101], v[100:101], 0.5, v[68:69] op_sel_hi:[1,0,1] neg_lo:[1,0,0] neg_hi:[1,0,0]
	v_mov_b32_e32 v34, v69
	v_pk_add_f32 v[124:125], v[100:101], v[122:123] op_sel:[0,1] op_sel_hi:[1,0] neg_lo:[0,1] neg_hi:[0,1]
	v_pk_add_f32 v[100:101], v[122:123], v[100:101] op_sel:[1,0] op_sel_hi:[0,1]
	v_pk_add_f32 v[122:123], v[124:125], v[120:121] op_sel:[0,1] op_sel_hi:[1,0] neg_lo:[0,1] neg_hi:[0,1]
	v_pk_add_f32 v[120:121], v[120:121], v[100:101] op_sel:[1,0] op_sel_hi:[0,1]
	v_mov_b32_e32 v100, v30
	v_mov_b32_e32 v101, v74
	v_pk_add_f32 v[124:125], v[26:27], v[30:31] neg_lo:[0,1] neg_hi:[0,1]
	v_mov_b32_e32 v27, v29
	v_pk_add_f32 v[100:101], v[100:101], v[26:27] neg_lo:[0,1] neg_hi:[0,1]
	v_pk_mul_f32 v[128:129], v[118:119], s[8:9] op_sel_hi:[1,0]
	v_add_f32_e32 v9, v100, v101
	v_mul_f32_e32 v32, 0x3e9e377a, v9
	v_pk_add_f32 v[126:127], v[32:33], v[102:103] op_sel_hi:[0,1]
	v_mov_b32_e32 v102, v114
	v_pk_mul_f32 v[100:101], v[114:115], s[6:7]
	v_mov_b32_e32 v114, v89
	v_mov_b32_e32 v103, v88
	v_pk_mul_f32 v[114:115], v[114:115], s[2:3] op_sel_hi:[1,0]
	v_mov_b32_e32 v32, v69
	v_mov_b32_e32 v69, v74
	v_pk_fma_f32 v[114:115], v[102:103], s[8:9], v[114:115] neg_lo:[0,0,1] neg_hi:[0,0,1]
	v_mov_b32_e32 v102, v75
	v_add_f32_e32 v9, v74, v13
	v_pk_add_f32 v[74:75], v[28:29], v[68:69]
	v_pk_add_f32 v[68:69], v[28:29], v[68:69] neg_lo:[0,1] neg_hi:[0,1]
	v_mov_b32_e32 v28, v71
	v_mov_b32_e32 v75, v69
	;; [unrolled: 1-line block ×3, first 2 shown]
	v_pk_add_f32 v[68:69], v[70:71], v[74:75]
	v_mov_b32_e32 v70, v65
	v_mov_b32_e32 v65, v35
	v_pk_add_f32 v[124:125], v[64:65], v[68:69]
	v_pk_mul_f32 v[64:65], v[64:65], v[68:69]
	v_pk_mul_f32 v[68:69], v[104:105], s[2:3]
	v_mov_b32_e32 v103, v128
	v_sub_f32_e32 v13, v17, v68
	v_add_f32_e32 v130, v40, v37
	v_mov_b32_e32 v131, v122
	v_sub_f32_e32 v13, v13, v69
	v_pk_add_f32 v[102:103], v[102:103], v[130:131]
	v_mov_b32_e32 v74, v67
	v_mov_b32_e32 v67, v13
	v_mov_b32_e32 v125, v65
	v_add_f32_e32 v13, v129, v121
	v_pk_add_f32 v[104:105], v[66:67], v[124:125]
	v_mul_f32_e32 v27, 0x3f167918, v13
	v_add_f32_e32 v66, v30, v9
	v_mul_f32_e32 v67, 0x3f4f1bbd, v103
	v_pk_add_f32 v[124:125], v[66:67], v[26:27]
	v_pk_add_f32 v[128:129], v[66:67], v[26:27] neg_lo:[0,1] neg_hi:[0,1]
	v_add_u32_e32 v97, 0x12c0, v116
	v_mov_b32_e32 v128, v124
	v_pk_add_f32 v[66:67], v[126:127], v[114:115]
	v_pk_add_f32 v[130:131], v[104:105], v[128:129]
	v_add_f32_e32 v9, v68, v17
	v_mov_b32_e32 v121, v123
	ds_write2_b64 v97, v[130:131], v[66:67] offset1:1
	v_add_f32_e32 v9, v69, v9
	v_pk_fma_f32 v[66:67], v[118:119], s[8:9], v[120:121] op_sel_hi:[1,0,1]
	v_add_f32_e32 v30, v65, v9
	v_pk_mul_f32 v[64:65], v[66:67], s[14:15]
	v_pk_add_f32 v[68:69], v[124:125], v[104:105] neg_lo:[0,1] neg_hi:[0,1]
	v_mov_b32_e32 v104, v105
	v_mov_b32_e32 v105, v126
	;; [unrolled: 1-line block ×5, first 2 shown]
	v_pk_add_f32 v[104:105], v[104:105], v[118:119] neg_lo:[0,1] neg_hi:[0,1]
	v_pk_fma_f32 v[118:119], v[66:67], s[14:15], v[64:65] neg_lo:[0,0,1] neg_hi:[0,0,1]
	v_add_u32_e32 v117, 0x12d0, v116
	v_pk_add_f32 v[64:65], v[30:31], v[118:119]
	v_add_f32_e32 v9, v2, v1
	v_mov_b32_e32 v65, v68
	ds_write2_b64 v117, v[64:65], v[104:105] offset1:1
	v_pk_add_f32 v[64:65], v[4:5], v[44:45]
	v_add_f32_e32 v17, v1, v60
	v_fma_f32 v23, -0.5, v64, v60
	v_fmac_f32_e32 v60, -0.5, v9
	v_pk_mul_f32 v[68:69], v[94:95], s[10:11]
	v_mov_b32_e32 v104, v42
	v_add_f32_e32 v9, v69, v60
	v_sub_f32_e32 v27, v60, v69
	v_sub_f32_e32 v60, v9, v68
	v_add_f32_e32 v61, v68, v27
	s_waitcnt vmcnt(0)
	v_mov_b32_e32 v68, v38
	v_mov_b32_e32 v69, v0
	;; [unrolled: 1-line block ×3, first 2 shown]
	v_pk_add_f32 v[104:105], v[68:69], v[104:105] neg_lo:[0,1] neg_hi:[0,1]
	v_mov_b32_e32 v68, v107
	v_mov_b32_e32 v69, v62
	;; [unrolled: 1-line block ×4, first 2 shown]
	v_pk_add_f32 v[68:69], v[68:69], v[106:107] neg_lo:[0,1] neg_hi:[0,1]
	ds_write_b64 v116, v[68:69] offset:32
	v_mov_b32_e32 v68, v127
	v_mov_b32_e32 v69, v30
	;; [unrolled: 1-line block ×4, first 2 shown]
	v_pk_add_f32 v[68:69], v[68:69], v[106:107] neg_lo:[0,1] neg_hi:[0,1]
	ds_write_b64 v116, v[68:69] offset:4832
	v_mov_b32_e32 v68, v0
	v_mov_b32_e32 v69, v14
	v_pk_add_f32 v[106:107], v[42:43], v[38:39] neg_lo:[0,1] neg_hi:[0,1]
	v_pk_add_f32 v[108:109], v[46:47], v[68:69] neg_lo:[0,1] neg_hi:[0,1]
	;; [unrolled: 1-line block ×3, first 2 shown]
	v_pk_add_f32 v[106:107], v[106:107], v[108:109]
	v_pk_add_f32 v[108:109], v[38:39], v[68:69]
	v_pk_mul_f32 v[114:115], v[110:111], s[2:3] op_sel_hi:[1,0]
	v_pk_fma_f32 v[108:109], v[108:109], 0.5, v[48:49] op_sel_hi:[1,0,1] neg_lo:[1,0,0] neg_hi:[1,0,0]
	v_mov_b32_e32 v9, v14
	v_pk_add_f32 v[118:119], v[108:109], v[114:115] op_sel:[0,1] op_sel_hi:[1,0] neg_lo:[0,1] neg_hi:[0,1]
	v_pk_add_f32 v[108:109], v[114:115], v[108:109] op_sel:[1,0] op_sel_hi:[0,1]
	v_pk_add_f32 v[114:115], v[68:69], v[38:39] neg_lo:[0,1] neg_hi:[0,1]
	v_pk_mul_f32 v[110:111], v[110:111], s[12:13] op_sel_hi:[1,0]
	v_pk_mul_f32 v[68:69], v[114:115], s[12:13] op_sel_hi:[1,0]
	;; [unrolled: 1-line block ×3, first 2 shown]
	v_pk_add_f32 v[118:119], v[68:69], v[118:119] op_sel:[1,0] op_sel_hi:[0,1]
	v_pk_add_f32 v[108:109], v[108:109], v[68:69] op_sel:[0,1] op_sel_hi:[1,0] neg_lo:[0,1] neg_hi:[0,1]
	v_pk_fma_f32 v[68:69], v[106:107], s[8:9], v[118:119] op_sel_hi:[1,0,1]
	v_pk_fma_f32 v[106:107], v[106:107], s[8:9], v[108:109] op_sel_hi:[1,0,1]
	v_pk_add_f32 v[108:109], v[8:9], v[46:47] neg_lo:[0,1] neg_hi:[0,1]
	v_pk_add_f32 v[118:119], v[38:39], v[42:43] neg_lo:[0,1] neg_hi:[0,1]
	v_mov_b32_e32 v108, v105
	v_mov_b32_e32 v118, v104
	v_pk_add_f32 v[104:105], v[42:43], v[46:47]
	v_pk_add_f32 v[108:109], v[118:119], v[108:109]
	v_pk_fma_f32 v[104:105], v[104:105], 0.5, v[48:49] op_sel_hi:[1,0,1] neg_lo:[1,0,0] neg_hi:[1,0,0]
	v_mov_b32_e32 v120, v106
	v_pk_add_f32 v[118:119], v[104:105], v[114:115] op_sel:[0,1] op_sel_hi:[1,0] neg_lo:[0,1] neg_hi:[0,1]
	v_pk_add_f32 v[104:105], v[114:115], v[104:105] op_sel:[1,0] op_sel_hi:[0,1]
	v_pk_add_f32 v[114:115], v[118:119], v[110:111] op_sel:[0,1] op_sel_hi:[1,0] neg_lo:[0,1] neg_hi:[0,1]
	v_pk_add_f32 v[118:119], v[110:111], v[104:105] op_sel:[1,0] op_sel_hi:[0,1]
	v_mov_b32_e32 v104, v4
	v_mov_b32_e32 v105, v44
	v_pk_add_f32 v[110:111], v[2:3], v[4:5] neg_lo:[0,1] neg_hi:[0,1]
	v_mov_b32_e32 v3, v1
	v_pk_add_f32 v[104:105], v[104:105], v[2:3] neg_lo:[0,1] neg_hi:[0,1]
	v_mov_b32_e32 v121, v68
	v_add_f32_e32 v3, v104, v105
	v_pk_mul_f32 v[104:105], v[106:107], s[6:7]
	v_mov_b32_e32 v106, v69
	v_pk_mul_f32 v[106:107], v[106:107], s[2:3] op_sel_hi:[1,0]
	v_mov_b32_e32 v62, v49
	v_mov_b32_e32 v64, v49
	;; [unrolled: 1-line block ×3, first 2 shown]
	v_pk_fma_f32 v[120:121], v[120:121], s[8:9], v[106:107] neg_lo:[0,0,1] neg_hi:[0,0,1]
	v_mov_b32_e32 v106, v45
	v_add_f32_e32 v9, v44, v17
	v_pk_add_f32 v[44:45], v[0:1], v[48:49]
	v_pk_add_f32 v[48:49], v[0:1], v[48:49] neg_lo:[0,1] neg_hi:[0,1]
	v_mov_b32_e32 v0, v47
	v_mov_b32_e32 v45, v49
	;; [unrolled: 1-line block ×3, first 2 shown]
	v_pk_add_f32 v[44:45], v[46:47], v[44:45]
	v_mov_b32_e32 v98, v43
	v_mov_b32_e32 v43, v35
	v_pk_add_f32 v[46:47], v[42:43], v[44:45]
	v_pk_mul_f32 v[42:43], v[42:43], v[44:45]
	v_pk_mul_f32 v[44:45], v[94:95], s[2:3]
	v_mul_f32_e32 v30, 0x3e9e377a, v3
	v_pk_mul_f32 v[122:123], v[108:109], s[8:9] op_sel_hi:[1,0]
	v_sub_f32_e32 v3, v23, v44
	v_mov_b32_e32 v107, v122
	v_add_f32_e32 v124, v12, v15
	v_mov_b32_e32 v125, v114
	v_sub_f32_e32 v3, v3, v45
	v_pk_add_f32 v[106:107], v[106:107], v[124:125]
	v_mov_b32_e32 v94, v39
	v_mov_b32_e32 v39, v3
	;; [unrolled: 1-line block ×3, first 2 shown]
	v_add_f32_e32 v140, v123, v119
	v_pk_add_f32 v[38:39], v[38:39], v[46:47]
	v_mul_f32_e32 v3, 0x3f167918, v140
	v_add_f32_e32 v46, v4, v9
	v_mul_f32_e32 v47, 0x3f4f1bbd, v107
	v_pk_add_f32 v[48:49], v[46:47], v[2:3]
	v_pk_add_f32 v[46:47], v[46:47], v[2:3] neg_lo:[0,1] neg_hi:[0,1]
	v_add_f32_e32 v3, v44, v23
	v_mov_b32_e32 v119, v115
	v_add_f32_e32 v3, v45, v3
	v_pk_fma_f32 v[108:109], v[108:109], s[8:9], v[118:119] op_sel_hi:[1,0,1]
	v_pk_add_f32 v[60:61], v[30:31], v[60:61] op_sel_hi:[0,1]
	v_mov_b32_e32 v46, v48
	v_add_u32_e32 v9, 0xf0, v8
	v_add_f32_e32 v4, v43, v3
	v_pk_mul_f32 v[42:43], v[108:109], s[14:15]
	v_mad_u32_u24 v110, v9, 40, 0
	v_pk_add_f32 v[122:123], v[60:61], v[120:121]
	v_pk_add_f32 v[124:125], v[38:39], v[46:47]
	v_mov_b32_e32 v30, v43
	v_mov_b32_e32 v118, v33
	v_mov_b32_e32 v119, 0x3f167918
	v_add_f32_e32 v3, v50, v40
	ds_write2_b64 v110, v[124:125], v[122:123] offset1:1
	v_pk_fma_f32 v[42:43], v[108:109], s[14:15], v[30:31] neg_lo:[0,0,1] neg_hi:[0,0,1]
	v_pk_add_f32 v[122:123], v[118:119], v[90:91]
	v_mov_b32_e32 v118, v31
	v_pk_add_f32 v[30:31], v[36:37], v[32:33]
	v_mov_b32_e32 v32, v37
	v_mov_b32_e32 v33, v29
	;; [unrolled: 1-line block ×3, first 2 shown]
	v_mul_f32_e32 v26, 0.5, v3
	v_pk_add_f32 v[126:127], v[32:33], v[26:27] neg_lo:[0,1] neg_hi:[0,1]
	v_mul_f32_e32 v35, 0.5, v99
	v_pk_mul_f32 v[26:27], v[126:127], s[2:3]
	v_mul_f32_e32 v32, 0x3f737871, v81
	v_mov_b32_e32 v33, v119
	v_pk_add_f32 v[124:125], v[36:37], v[34:35] neg_lo:[0,1] neg_hi:[0,1]
	v_mov_b32_e32 v26, v27
	v_fmamk_f32 v27, v81, 0xbf737871, v126
	v_pk_add_f32 v[34:35], v[126:127], v[32:33]
	v_pk_fma_f32 v[32:33], v[126:127], v[32:33], v[26:27]
	v_pk_add_f32 v[26:27], v[34:35], v[26:27] neg_lo:[0,1] neg_hi:[0,1]
	v_mov_b32_e32 v31, v125
	v_mov_b32_e32 v27, v33
	v_pk_add_f32 v[32:33], v[76:77], v[50:51] neg_lo:[0,1] neg_hi:[0,1]
	v_mul_f32_e32 v29, 0x3f737871, v127
	v_add_f32_e32 v3, v32, v33
	v_mul_f32_e32 v32, 0x3e9e377a, v3
	v_pk_add_f32 v[128:129], v[32:33], v[26:27] op_sel_hi:[0,1]
	v_pk_add_f32 v[26:27], v[28:29], v[30:31]
	v_mov_b32_e32 v71, v93
	v_pk_add_f32 v[26:27], v[70:71], v[26:27]
	v_mov_b32_e32 v75, v92
	v_pk_add_f32 v[134:135], v[74:75], v[26:27]
	v_pk_add_f32 v[26:27], v[118:119], v[102:103]
	v_pk_mul_f32 v[28:29], v[102:103], s[2:3]
	v_mul_f32_e32 v51, 0x3f4f1bbd, v13
	v_mov_b32_e32 v27, v29
	v_pk_fma_f32 v[130:131], v[88:89], s[6:7], v[100:101] op_sel:[0,0,1] op_sel_hi:[1,1,0]
	v_pk_fma_f32 v[132:133], v[88:89], s[6:7], v[100:101] op_sel:[0,0,1] op_sel_hi:[1,1,0] neg_lo:[0,0,1] neg_hi:[0,0,1]
	v_pk_add_f32 v[136:137], v[50:51], v[26:27]
	v_mov_b32_e32 v26, v61
	v_mov_b32_e32 v27, v4
	;; [unrolled: 1-line block ×4, first 2 shown]
	v_pk_add_f32 v[44:45], v[48:49], v[38:39] neg_lo:[0,1] neg_hi:[0,1]
	v_mov_b32_e32 v38, v39
	v_mov_b32_e32 v39, v60
	v_mov_b32_e32 v46, v47
	v_mov_b32_e32 v47, v120
	v_pk_add_f32 v[26:27], v[26:27], v[28:29] neg_lo:[0,1] neg_hi:[0,1]
	v_mov_b32_e32 v133, v131
	v_pk_add_f32 v[38:39], v[38:39], v[46:47] neg_lo:[0,1] neg_hi:[0,1]
	v_pk_add_f32 v[46:47], v[4:5], v[42:43]
	ds_write_b64 v110, v[26:27] offset:32
	v_pk_add_f32 v[26:27], v[128:129], v[132:133]
	s_movk_i32 s8, 0xffdc
	v_add_u32_e32 v74, 0x168, v8
	v_mov_b32_e32 v47, v44
	v_mov_b32_e32 v120, v27
	;; [unrolled: 1-line block ×3, first 2 shown]
	v_mad_i32_i24 v70, v8, s8, v116
	v_lshl_add_u32 v71, v74, 2, 0
	v_pk_add_f32 v[138:139], v[134:135], v[136:137]
	v_fmac_f32_e32 v125, 0xbf737871, v127
	ds_write2_b64 v110, v[46:47], v[38:39] offset0:2 offset1:3
	s_waitcnt lgkmcnt(0)
	s_barrier
	v_mad_i32_i24 v75, v9, s8, v110
	v_add_u32_e32 v115, 0xa00, v70
	v_add_u32_e32 v111, 0xe00, v70
	;; [unrolled: 1-line block ×13, first 2 shown]
	ds_read_b32 v114, v71
	ds_read_b32 v13, v75
	ds_read2_b32 v[26:27], v70 offset1:120
	ds_read2_b32 v[60:61], v115 offset0:80 offset1:200
	ds_read2_b32 v[48:49], v111 offset0:64 offset1:184
	;; [unrolled: 1-line block ×13, first 2 shown]
	s_waitcnt lgkmcnt(0)
	s_barrier
	ds_write2_b64 v97, v[138:139], v[120:121] offset1:1
	v_mul_f32_e32 v120, 0xbf4f1bbd, v67
	v_sub_f32_e32 v3, v125, v93
	v_fmac_f32_e32 v120, 0x3f167918, v66
	v_add_f32_e32 v66, v92, v3
	v_mov_b32_e32 v67, v136
	v_mov_b32_e32 v121, v134
	;; [unrolled: 1-line block ×5, first 2 shown]
	v_pk_add_f32 v[124:125], v[66:67], v[120:121]
	v_pk_add_f32 v[126:127], v[66:67], v[120:121] neg_lo:[0,1] neg_hi:[0,1]
	v_pk_add_f32 v[92:93], v[92:93], v[130:131] neg_lo:[0,1] neg_hi:[0,1]
	v_mov_b32_e32 v125, v127
	v_mul_f32_e32 v53, 0.5, v53
	v_add_f32_e32 v3, v24, v22
	ds_write2_b64 v117, v[124:125], v[92:93] offset1:1
	v_pk_add_f32 v[92:93], v[20:21], v[56:57]
	v_pk_add_f32 v[52:53], v[20:21], v[52:53] neg_lo:[0,1] neg_hi:[0,1]
	v_mov_b32_e32 v20, v21
	v_mov_b32_e32 v21, v7
	;; [unrolled: 1-line block ×3, first 2 shown]
	v_mul_f32_e32 v124, 0.5, v3
	v_pk_add_f32 v[20:21], v[20:21], v[124:125] neg_lo:[0,1] neg_hi:[0,1]
	v_mul_f32_e32 v56, 0x3f737871, v57
	v_pk_mul_f32 v[124:125], v[20:21], s[2:3]
	v_mov_b32_e32 v93, v53
	v_mov_b32_e32 v124, v125
	v_fmamk_f32 v125, v57, 0xbf737871, v20
	v_mov_b32_e32 v57, v119
	v_mul_f32_e32 v7, 0x3f737871, v21
	v_pk_add_f32 v[126:127], v[20:21], v[56:57]
	v_pk_add_f32 v[54:55], v[54:55], v[24:25] neg_lo:[0,1] neg_hi:[0,1]
	v_pk_add_f32 v[6:7], v[6:7], v[92:93]
	v_mov_b32_e32 v97, v85
	v_pk_fma_f32 v[56:57], v[20:21], v[56:57], v[124:125]
	v_pk_add_f32 v[124:125], v[126:127], v[124:125] neg_lo:[0,1] neg_hi:[0,1]
	v_add_f32_e32 v3, v54, v55
	v_pk_add_f32 v[6:7], v[96:97], v[6:7]
	v_mov_b32_e32 v81, v84
	v_mov_b32_e32 v125, v57
	v_mul_f32_e32 v4, 0x3e9e377a, v3
	v_pk_fma_f32 v[56:57], v[78:79], s[6:7], v[86:87] op_sel:[0,0,1] op_sel_hi:[1,1,0]
	v_pk_fma_f32 v[78:79], v[78:79], s[6:7], v[86:87] op_sel:[0,0,1] op_sel_hi:[1,1,0] neg_lo:[0,0,1] neg_hi:[0,0,1]
	v_pk_add_f32 v[6:7], v[80:81], v[6:7]
	v_pk_mul_f32 v[80:81], v[90:91], s[2:3]
	v_pk_add_f32 v[54:55], v[4:5], v[124:125] op_sel_hi:[0,1]
	v_mov_b32_e32 v123, v81
	v_mul_f32_e32 v25, 0x3f4f1bbd, v112
	v_mov_b32_e32 v79, v57
	v_fmac_f32_e32 v53, 0xbf737871, v21
	v_pk_add_f32 v[24:25], v[24:25], v[122:123]
	v_pk_add_f32 v[80:81], v[54:55], v[78:79]
	v_mul_f32_e32 v20, 0xbf4f1bbd, v83
	v_sub_f32_e32 v3, v53, v85
	v_mov_b32_e32 v86, v81
	v_mov_b32_e32 v87, v80
	v_pk_add_f32 v[80:81], v[6:7], v[24:25]
	v_fmac_f32_e32 v20, 0x3f167918, v82
	v_add_f32_e32 v52, v84, v3
	v_mov_b32_e32 v53, v24
	v_mov_b32_e32 v56, v25
	;; [unrolled: 1-line block ×5, first 2 shown]
	v_pk_add_f32 v[6:7], v[6:7], v[56:57] neg_lo:[0,1] neg_hi:[0,1]
	v_pk_add_f32 v[24:25], v[52:53], v[20:21]
	v_pk_add_f32 v[56:57], v[52:53], v[20:21] neg_lo:[0,1] neg_hi:[0,1]
	v_mov_b32_e32 v55, v52
	v_mov_b32_e32 v25, v57
	;; [unrolled: 1-line block ×3, first 2 shown]
	ds_write2_b64 v116, v[24:25], v[6:7] offset0:2 offset1:3
	v_pk_add_f32 v[6:7], v[54:55], v[78:79] neg_lo:[0,1] neg_hi:[0,1]
	v_mov_b32_e32 v129, v66
	v_mov_b32_e32 v133, v120
	v_mul_f32_e32 v65, 0.5, v65
	ds_write2_b64 v116, v[80:81], v[86:87] offset1:1
	v_pk_add_f32 v[20:21], v[128:129], v[132:133] neg_lo:[0,1] neg_hi:[0,1]
	ds_write_b64 v116, v[6:7] offset:32
	ds_write_b64 v116, v[20:21] offset:4832
	v_mov_b32_e32 v118, v5
	v_pk_add_f32 v[4:5], v[14:15], v[62:63]
	v_pk_add_f32 v[6:7], v[14:15], v[64:65] neg_lo:[0,1] neg_hi:[0,1]
	v_mov_b32_e32 v14, v15
	v_mov_b32_e32 v15, v1
	v_add_f32_e32 v1, v18, v12
	v_mov_b32_e32 v3, v2
	v_mul_f32_e32 v2, 0.5, v1
	v_pk_add_f32 v[2:3], v[14:15], v[2:3] neg_lo:[0,1] neg_hi:[0,1]
	v_mul_f32_e32 v20, 0x3f737871, v63
	v_pk_mul_f32 v[14:15], v[2:3], s[2:3]
	v_mov_b32_e32 v21, v119
	v_mov_b32_e32 v14, v15
	v_fmamk_f32 v15, v63, 0xbf737871, v2
	v_pk_add_f32 v[24:25], v[2:3], v[20:21]
	v_pk_fma_f32 v[20:21], v[2:3], v[20:21], v[14:15]
	v_pk_add_f32 v[14:15], v[24:25], v[14:15] neg_lo:[0,1] neg_hi:[0,1]
	v_mov_b32_e32 v5, v7
	v_mov_b32_e32 v15, v21
	v_pk_add_f32 v[20:21], v[58:59], v[18:19] neg_lo:[0,1] neg_hi:[0,1]
	v_pk_fma_f32 v[24:25], v[68:69], s[6:7], v[104:105] op_sel:[0,0,1] op_sel_hi:[1,1,0] neg_lo:[0,0,1] neg_hi:[0,0,1]
	v_add_f32_e32 v1, v20, v21
	v_mul_f32_e32 v2, 0x3e9e377a, v1
	v_mul_f32_e32 v1, 0x3f737871, v3
	v_pk_fma_f32 v[20:21], v[68:69], s[6:7], v[104:105] op_sel:[0,0,1] op_sel_hi:[1,1,0]
	v_pk_add_f32 v[0:1], v[0:1], v[4:5]
	v_mov_b32_e32 v99, v73
	v_pk_add_f32 v[4:5], v[118:119], v[106:107]
	v_pk_mul_f32 v[52:53], v[106:107], s[2:3]
	v_pk_add_f32 v[14:15], v[2:3], v[14:15] op_sel_hi:[0,1]
	v_pk_add_f32 v[0:1], v[98:99], v[0:1]
	v_mov_b32_e32 v95, v72
	v_mov_b32_e32 v5, v53
	v_mul_f32_e32 v19, 0x3f4f1bbd, v140
	v_mov_b32_e32 v25, v21
	v_fmac_f32_e32 v7, 0xbf737871, v3
	v_pk_add_f32 v[0:1], v[94:95], v[0:1]
	v_pk_add_f32 v[4:5], v[18:19], v[4:5]
	;; [unrolled: 1-line block ×3, first 2 shown]
	v_mul_f32_e32 v2, 0xbf4f1bbd, v109
	v_sub_f32_e32 v3, v7, v73
	v_mov_b32_e32 v52, v19
	v_mov_b32_e32 v53, v18
	v_pk_add_f32 v[18:19], v[0:1], v[4:5]
	v_fmac_f32_e32 v2, 0x3f167918, v108
	v_add_f32_e32 v6, v72, v3
	v_mov_b32_e32 v7, v4
	v_mov_b32_e32 v3, v0
	ds_write2_b64 v110, v[18:19], v[52:53] offset1:1
	v_pk_add_f32 v[18:19], v[6:7], v[2:3]
	v_mov_b32_e32 v20, v5
	v_pk_add_f32 v[4:5], v[6:7], v[2:3] neg_lo:[0,1] neg_hi:[0,1]
	v_mov_b32_e32 v0, v1
	v_mov_b32_e32 v1, v15
	v_pk_add_f32 v[0:1], v[0:1], v[20:21] neg_lo:[0,1] neg_hi:[0,1]
	v_mov_b32_e32 v19, v5
	v_mov_b32_e32 v15, v6
	;; [unrolled: 1-line block ×3, first 2 shown]
	ds_write2_b64 v110, v[18:19], v[0:1] offset0:2 offset1:3
	v_pk_add_f32 v[0:1], v[14:15], v[24:25] neg_lo:[0,1] neg_hi:[0,1]
	s_movk_i32 s2, 0xcd
	ds_write_b64 v110, v[0:1] offset:32
	v_mul_lo_u16_sdwa v0, v8, s2 dst_sel:DWORD dst_unused:UNUSED_PAD src0_sel:BYTE_0 src1_sel:DWORD
	v_lshrrev_b16_e32 v15, 11, v0
	v_mul_lo_u16_e32 v0, 10, v15
	v_sub_u16_e32 v16, v8, v0
	v_mov_b32_e32 v0, 9
	v_mul_u32_u24_sdwa v1, v16, v0 dst_sel:DWORD dst_unused:UNUSED_PAD src0_sel:BYTE_0 src1_sel:DWORD
	v_lshlrev_b32_e32 v18, 3, v1
	s_waitcnt lgkmcnt(0)
	s_barrier
	global_load_dwordx4 v[4:7], v18, s[4:5]
	v_add_u16_e32 v52, 0x78, v8
	v_mul_lo_u16_sdwa v1, v52, s2 dst_sel:DWORD dst_unused:UNUSED_PAD src0_sel:BYTE_0 src1_sel:DWORD
	v_lshrrev_b16_e32 v12, 11, v1
	v_mul_lo_u16_e32 v1, 10, v12
	v_sub_u16_e32 v14, v52, v1
	v_mul_u32_u24_sdwa v0, v14, v0 dst_sel:DWORD dst_unused:UNUSED_PAD src0_sel:BYTE_0 src1_sel:DWORD
	v_lshlrev_b32_e32 v21, 3, v0
	global_load_dwordx4 v[0:3], v21, s[4:5]
	s_mov_b32 s2, 0xcccd
	v_mul_u32_u24_sdwa v19, v9, s2 dst_sel:DWORD dst_unused:UNUSED_PAD src0_sel:WORD_0 src1_sel:DWORD
	v_lshrrev_b32_e32 v19, 19, v19
	v_mul_lo_u16_e32 v20, 10, v19
	v_sub_u16_e32 v20, v9, v20
	v_mul_u32_u24_e32 v22, 9, v20
	v_lshlrev_b32_e32 v22, 3, v22
	global_load_dwordx4 v[78:81], v22, s[4:5]
	global_load_dwordx4 v[82:85], v18, s[4:5] offset:16
	global_load_dwordx4 v[90:93], v21, s[4:5] offset:16
	;; [unrolled: 1-line block ×5, first 2 shown]
	ds_read_b32 v54, v71
	ds_read2_b32 v[24:25], v115 offset0:80 offset1:200
	global_load_dwordx4 v[120:123], v22, s[4:5] offset:32
	global_load_dwordx4 v[128:131], v22, s[4:5] offset:48
	global_load_dwordx4 v[124:127], v18, s[4:5] offset:48
	ds_read_b32 v53, v75
	v_mul_u32_u24_e32 v12, 0x190, v12
	s_movk_i32 s2, 0x64
	v_cmp_gt_u32_e32 vcc, s2, v8
	s_movk_i32 s2, 0x63
	s_mov_b32 s8, 0.5
	s_movk_i32 s11, 0x2000
	s_movk_i32 s10, 0x3000
	;; [unrolled: 1-line block ×3, first 2 shown]
	s_mov_b32 s6, 0x3f5db3d7
	s_waitcnt vmcnt(10) lgkmcnt(2)
	v_mul_f32_e32 v58, v54, v5
	v_mul_f32_e32 v5, v114, v5
	v_fmac_f32_e32 v58, v114, v4
	v_fma_f32 v59, v54, v4, -v5
	global_load_dwordx2 v[54:55], v18, s[4:5] offset:64
	s_waitcnt lgkmcnt(1)
	v_mul_f32_e32 v4, v24, v7
	v_mul_f32_e32 v5, v60, v7
	v_fmac_f32_e32 v4, v60, v6
	v_fma_f32 v62, v24, v6, -v5
	ds_read2_b32 v[6:7], v113 offset0:96 offset1:216
	global_load_dwordx4 v[112:115], v21, s[4:5] offset:48
	s_waitcnt vmcnt(11)
	v_mul_f32_e32 v67, v25, v3
	v_mul_f32_e32 v3, v61, v3
	v_fmac_f32_e32 v67, v61, v2
	s_waitcnt lgkmcnt(0)
	v_mul_f32_e32 v64, v6, v1
	v_mul_f32_e32 v1, v50, v1
	v_fmac_f32_e32 v64, v50, v0
	v_fma_f32 v65, v6, v0, -v1
	ds_read2_b32 v[0:1], v111 offset0:64 offset1:184
	v_fma_f32 v63, v25, v2, -v3
	s_waitcnt vmcnt(10)
	v_mul_f32_e32 v2, v51, v79
	v_fma_f32 v57, v7, v78, -v2
	v_mul_f32_e32 v2, v48, v81
	v_mul_f32_e32 v56, v7, v79
	s_waitcnt lgkmcnt(0)
	v_mul_f32_e32 v61, v0, v81
	v_fma_f32 v60, v0, v80, -v2
	s_waitcnt vmcnt(9)
	v_mul_f32_e32 v0, v49, v83
	v_fmac_f32_e32 v56, v51, v78
	v_mul_f32_e32 v50, v1, v83
	v_fma_f32 v51, v1, v82, -v0
	global_load_dwordx2 v[0:1], v21, s[4:5] offset:64
	v_fmac_f32_e32 v61, v48, v80
	v_fmac_f32_e32 v50, v49, v82
	global_load_dwordx2 v[48:49], v22, s[4:5] offset:64
	ds_read2_b32 v[6:7], v103 offset0:32 offset1:152
	ds_read2_b32 v[24:25], v102 offset0:48 offset1:168
	v_mul_f32_e32 v3, v46, v85
	s_waitcnt lgkmcnt(1)
	v_fma_f32 v80, v6, v84, -v3
	s_waitcnt vmcnt(10)
	v_mul_f32_e32 v3, v47, v93
	v_mul_f32_e32 v2, v6, v85
	;; [unrolled: 1-line block ×3, first 2 shown]
	v_fma_f32 v68, v7, v92, -v3
	v_mul_f32_e32 v3, v44, v91
	v_fmac_f32_e32 v2, v46, v84
	v_fmac_f32_e32 v69, v47, v92
	s_waitcnt lgkmcnt(0)
	v_fma_f32 v98, v24, v90, -v3
	ds_read2_b32 v[46:47], v101 offset0:16 offset1:136
	s_waitcnt vmcnt(9)
	v_mul_f32_e32 v3, v45, v95
	v_mul_f32_e32 v72, v24, v91
	;; [unrolled: 1-line block ×3, first 2 shown]
	v_fma_f32 v7, v25, v94, -v3
	ds_read2_b32 v[24:25], v100 offset0:112 offset1:232
	v_fmac_f32_e32 v72, v44, v90
	v_fmac_f32_e32 v21, v45, v94
	ds_read2_b32 v[44:45], v76 offset0:128 offset1:248
	s_waitcnt lgkmcnt(2)
	v_mul_f32_e32 v66, v46, v97
	v_mul_f32_e32 v3, v42, v97
	s_waitcnt vmcnt(8)
	v_mul_f32_e32 v6, v40, v107
	v_fmac_f32_e32 v66, v42, v96
	v_fma_f32 v42, v46, v96, -v3
	v_mul_f32_e32 v3, v43, v105
	s_waitcnt lgkmcnt(1)
	v_fma_f32 v87, v24, v106, -v6
	s_waitcnt vmcnt(7)
	v_mul_f32_e32 v6, v41, v119
	v_mul_f32_e32 v46, v47, v105
	v_fma_f32 v3, v47, v104, -v3
	v_mul_f32_e32 v5, v24, v107
	v_mul_f32_e32 v81, v25, v119
	v_fma_f32 v78, v25, v118, -v6
	s_waitcnt lgkmcnt(0)
	v_mul_f32_e32 v47, v44, v117
	v_mul_f32_e32 v6, v38, v117
	ds_read2_b32 v[24:25], v89 offset0:96 offset1:216
	s_waitcnt vmcnt(6)
	v_mul_f32_e32 v22, v45, v121
	v_fmac_f32_e32 v47, v38, v116
	v_fma_f32 v79, v44, v116, -v6
	v_fmac_f32_e32 v22, v39, v120
	v_mul_f32_e32 v6, v39, v121
	ds_read2_b32 v[38:39], v88 offset0:64 offset1:184
	v_fmac_f32_e32 v5, v40, v106
	v_fma_f32 v40, v45, v120, -v6
	v_mul_f32_e32 v6, v36, v123
	v_fmac_f32_e32 v46, v43, v104
	v_fmac_f32_e32 v81, v41, v118
	s_waitcnt lgkmcnt(1)
	v_mul_f32_e32 v43, v24, v123
	v_fma_f32 v41, v24, v122, -v6
	s_waitcnt vmcnt(4)
	v_mul_f32_e32 v6, v37, v125
	v_mul_f32_e32 v24, v34, v127
	v_fmac_f32_e32 v43, v36, v122
	v_mul_f32_e32 v36, v25, v125
	v_fma_f32 v6, v25, v124, -v6
	s_waitcnt lgkmcnt(0)
	v_fma_f32 v90, v38, v126, -v24
	ds_read2_b32 v[24:25], v77 offset0:80 offset1:200
	v_mul_f32_e32 v18, v38, v127
	v_fmac_f32_e32 v18, v34, v126
	s_waitcnt vmcnt(2)
	v_mul_f32_e32 v86, v39, v115
	v_mul_f32_e32 v34, v35, v115
	v_fmac_f32_e32 v86, v35, v114
	v_fma_f32 v82, v39, v114, -v34
	ds_read2_b32 v[34:35], v23 offset0:48 offset1:168
	v_fmac_f32_e32 v36, v37, v124
	s_waitcnt lgkmcnt(1)
	v_mul_f32_e32 v37, v24, v113
	v_fmac_f32_e32 v37, v32, v112
	v_mul_f32_e32 v32, v32, v113
	v_fma_f32 v83, v24, v112, -v32
	v_mul_f32_e32 v24, v33, v129
	v_mul_f32_e32 v23, v25, v129
	v_fma_f32 v32, v25, v128, -v24
	v_mul_f32_e32 v24, v30, v131
	v_fmac_f32_e32 v23, v33, v128
	s_waitcnt lgkmcnt(0)
	v_fma_f32 v33, v34, v130, -v24
	ds_read2_b32 v[24:25], v17 offset0:32 offset1:152
	v_mul_f32_e32 v77, v34, v131
	v_fmac_f32_e32 v77, v30, v130
	v_mul_f32_e32 v30, v35, v55
	v_fmac_f32_e32 v30, v31, v54
	v_mul_f32_e32 v17, v31, v55
	s_waitcnt vmcnt(1) lgkmcnt(0)
	v_mul_f32_e32 v31, v24, v1
	v_mul_f32_e32 v1, v28, v1
	v_fmac_f32_e32 v31, v28, v0
	v_fma_f32 v85, v24, v0, -v1
	s_waitcnt vmcnt(0)
	v_mul_f32_e32 v0, v29, v49
	v_fma_f32 v73, v25, v48, -v0
	v_add_f32_e32 v0, v69, v81
	v_mul_f32_e32 v24, v25, v49
	v_fma_f32 v25, -0.5, v0, v27
	v_add_f32_e32 v0, v67, v86
	v_add_f32_e32 v28, v27, v67
	v_fmac_f32_e32 v27, -0.5, v0
	v_sub_f32_e32 v0, v69, v67
	v_sub_f32_e32 v1, v81, v86
	v_fmac_f32_e32 v24, v29, v48
	v_add_f32_e32 v29, v0, v1
	v_add_f32_e32 v0, v47, v37
	v_fma_f32 v84, -0.5, v0, v64
	v_add_f32_e32 v0, v72, v31
	v_fma_f32 v17, v35, v54, -v17
	v_add_f32_e32 v35, v64, v72
	v_fmac_f32_e32 v64, -0.5, v0
	v_sub_f32_e32 v0, v47, v72
	v_sub_f32_e32 v1, v37, v31
	v_add_f32_e32 v38, v0, v1
	v_add_f32_e32 v0, v79, v83
	v_fma_f32 v88, -0.5, v0, v65
	v_add_f32_e32 v0, v98, v85
	v_add_f32_e32 v89, v65, v98
	v_fmac_f32_e32 v65, -0.5, v0
	v_sub_f32_e32 v97, v47, v37
	v_sub_f32_e32 v0, v79, v98
	;; [unrolled: 1-line block ×4, first 2 shown]
	v_fmamk_f32 v92, v97, 0xbf737871, v65
	v_fmac_f32_e32 v65, 0x3f737871, v97
	v_sub_f32_e32 v99, v72, v31
	v_add_f32_e32 v39, v0, v1
	v_add_f32_e32 v0, v2, v5
	v_sub_f32_e32 v48, v68, v78
	v_fmamk_f32 v91, v55, 0x3f737871, v64
	v_fmac_f32_e32 v64, 0xbf737871, v55
	v_sub_f32_e32 v96, v98, v85
	v_fmac_f32_e32 v65, 0xbf167918, v99
	v_fma_f32 v44, -0.5, v0, v26
	v_add_f32_e32 v0, v4, v18
	v_fmamk_f32 v49, v48, 0x3f737871, v27
	v_fmac_f32_e32 v27, 0xbf737871, v48
	v_sub_f32_e32 v54, v63, v82
	v_fmac_f32_e32 v64, 0x3f167918, v96
	v_fmac_f32_e32 v65, 0x3e9e377a, v39
	v_fma_f32 v45, -0.5, v0, v26
	v_fmac_f32_e32 v27, 0x3f167918, v54
	v_fmac_f32_e32 v64, 0x3e9e377a, v38
	v_mul_f32_e32 v0, 0xbf737871, v65
	v_fmac_f32_e32 v27, 0x3e9e377a, v29
	v_fmac_f32_e32 v0, 0xbe9e377a, v64
	v_add_f32_e32 v100, v27, v0
	v_sub_f32_e32 v27, v27, v0
	v_add_f32_e32 v0, v26, v4
	v_sub_f32_e32 v1, v4, v2
	v_sub_f32_e32 v26, v18, v5
	v_add_f32_e32 v26, v1, v26
	v_sub_f32_e32 v1, v50, v46
	;; [unrolled: 3-line block ×3, first 2 shown]
	v_sub_f32_e32 v34, v17, v6
	v_add_f32_e32 v102, v1, v34
	v_mov_b32_e32 v34, 2
	v_add_f32_e32 v0, v0, v2
	v_mul_u32_u24_e32 v1, 0x190, v15
	v_lshlrev_b32_sdwa v15, v34, v16 dst_sel:DWORD dst_unused:UNUSED_PAD src0_sel:DWORD src1_sel:BYTE_0
	v_add_f32_e32 v0, v0, v5
	v_add3_u32 v93, 0, v1, v15
	v_add_f32_e32 v15, v0, v18
	v_add_f32_e32 v0, v58, v50
	v_add_f32_e32 v0, v0, v46
	v_add_f32_e32 v0, v0, v36
	v_add_f32_e32 v105, v0, v30
	v_add_f32_e32 v0, v46, v36
	v_fma_f32 v94, -0.5, v0, v58
	v_add_f32_e32 v0, v3, v6
	v_fma_f32 v95, -0.5, v0, v59
	v_sub_f32_e32 v109, v50, v30
	v_sub_f32_e32 v106, v51, v17
	v_fmamk_f32 v111, v109, 0x3f737871, v95
	v_sub_f32_e32 v112, v46, v36
	v_sub_f32_e32 v16, v62, v90
	v_fmamk_f32 v107, v106, 0xbf737871, v94
	v_sub_f32_e32 v108, v3, v6
	v_fmac_f32_e32 v111, 0x3f167918, v112
	v_fmamk_f32 v103, v16, 0xbf737871, v44
	v_sub_f32_e32 v104, v80, v87
	v_fmac_f32_e32 v107, 0xbf167918, v108
	v_fmac_f32_e32 v111, 0x3e9e377a, v102
	;; [unrolled: 1-line block ×4, first 2 shown]
	v_mul_f32_e32 v113, 0xbf167918, v111
	v_fmac_f32_e32 v103, 0x3e9e377a, v26
	v_fmac_f32_e32 v113, 0x3f4f1bbd, v107
	v_add_f32_e32 v114, v15, v105
	v_add_f32_e32 v115, v103, v113
	ds_read2_b32 v[0:1], v70 offset1:120
	s_waitcnt lgkmcnt(0)
	s_barrier
	ds_write2_b32 v93, v114, v115 offset1:10
	v_sub_f32_e32 v114, v2, v4
	v_sub_f32_e32 v115, v5, v18
	v_add_f32_e32 v114, v114, v115
	v_fmamk_f32 v115, v104, 0x3f737871, v45
	v_fmac_f32_e32 v45, 0xbf737871, v104
	v_fmac_f32_e32 v115, 0xbf167918, v16
	;; [unrolled: 1-line block ×5, first 2 shown]
	v_add_f32_e32 v114, v50, v30
	v_fmac_f32_e32 v58, -0.5, v114
	v_sub_f32_e32 v46, v46, v50
	v_sub_f32_e32 v30, v36, v30
	v_fmamk_f32 v114, v108, 0x3f737871, v58
	v_fmac_f32_e32 v58, 0xbf737871, v108
	v_add_f32_e32 v30, v46, v30
	v_fmac_f32_e32 v114, 0xbf167918, v106
	v_fmac_f32_e32 v58, 0x3f167918, v106
	v_add_f32_e32 v36, v51, v17
	v_fmac_f32_e32 v114, 0x3e9e377a, v30
	v_fmac_f32_e32 v58, 0x3e9e377a, v30
	v_add_f32_e32 v30, v59, v51
	v_fmac_f32_e32 v59, -0.5, v36
	v_fmac_f32_e32 v95, 0xbf737871, v109
	v_sub_f32_e32 v36, v3, v51
	v_sub_f32_e32 v46, v6, v17
	v_fmamk_f32 v116, v112, 0xbf737871, v59
	v_fmac_f32_e32 v94, 0x3f737871, v106
	v_fmac_f32_e32 v95, 0xbf167918, v112
	v_add_f32_e32 v36, v36, v46
	v_fmac_f32_e32 v116, 0x3f167918, v109
	v_fmac_f32_e32 v59, 0x3f737871, v112
	;; [unrolled: 1-line block ×9, first 2 shown]
	v_mul_f32_e32 v16, 0xbf167918, v95
	v_fmac_f32_e32 v59, 0x3e9e377a, v36
	v_mul_f32_e32 v36, 0xbf737871, v116
	v_fmac_f32_e32 v44, 0x3e9e377a, v26
	v_fmac_f32_e32 v16, 0xbf4f1bbd, v94
	v_fmac_f32_e32 v36, 0x3e9e377a, v114
	v_mul_f32_e32 v46, 0xbf737871, v59
	v_sub_f32_e32 v15, v15, v105
	v_add_f32_e32 v26, v44, v16
	v_fmac_f32_e32 v46, 0xbe9e377a, v58
	ds_write2_b32 v93, v26, v15 offset0:40 offset1:50
	v_sub_f32_e32 v15, v103, v113
	v_sub_f32_e32 v26, v115, v36
	ds_write2_b32 v93, v15, v26 offset0:60 offset1:70
	v_sub_f32_e32 v15, v45, v46
	v_sub_f32_e32 v16, v44, v16
	ds_write2_b32 v93, v15, v16 offset0:80 offset1:90
	v_sub_f32_e32 v15, v67, v69
	v_sub_f32_e32 v16, v86, v81
	v_add_f32_e32 v15, v15, v16
	v_add_f32_e32 v16, v35, v47
	;; [unrolled: 1-line block ×3, first 2 shown]
	v_sub_f32_e32 v26, v72, v47
	v_add_f32_e32 v16, v16, v31
	v_sub_f32_e32 v31, v31, v37
	v_add_f32_e32 v26, v26, v31
	v_sub_f32_e32 v31, v98, v79
	v_sub_f32_e32 v35, v85, v83
	v_lshlrev_b32_sdwa v14, v34, v14 dst_sel:DWORD dst_unused:UNUSED_PAD src0_sel:DWORD src1_sel:BYTE_0
	v_fmamk_f32 v102, v99, 0x3f737871, v88
	v_fmac_f32_e32 v88, 0xbf737871, v99
	v_add_f32_e32 v31, v31, v35
	v_add3_u32 v98, 0, v12, v14
	v_fmamk_f32 v14, v54, 0xbf737871, v25
	v_fmamk_f32 v101, v96, 0xbf737871, v84
	v_fmac_f32_e32 v25, 0x3f737871, v54
	v_fmac_f32_e32 v84, 0x3f737871, v96
	;; [unrolled: 1-line block ×3, first 2 shown]
	v_add_f32_e32 v12, v28, v69
	v_fmac_f32_e32 v14, 0xbf167918, v48
	v_fmac_f32_e32 v102, 0x3f167918, v97
	;; [unrolled: 1-line block ×6, first 2 shown]
	v_add_f32_e32 v12, v12, v81
	v_fmac_f32_e32 v14, 0x3e9e377a, v15
	v_fmac_f32_e32 v101, 0xbf167918, v55
	;; [unrolled: 1-line block ×8, first 2 shown]
	v_mul_f32_e32 v15, 0xbf167918, v88
	v_add_f32_e32 v12, v12, v86
	v_fmac_f32_e32 v101, 0x3e9e377a, v26
	v_mul_f32_e32 v28, 0xbf167918, v102
	v_fmac_f32_e32 v49, 0x3e9e377a, v29
	v_fmac_f32_e32 v91, 0x3e9e377a, v38
	v_mul_f32_e32 v29, 0xbf737871, v92
	v_fmac_f32_e32 v15, 0xbf4f1bbd, v84
	v_add_f32_e32 v50, v115, v36
	v_add_f32_e32 v51, v45, v46
	v_fmac_f32_e32 v28, 0x3f4f1bbd, v101
	v_add_f32_e32 v35, v12, v16
	v_fmac_f32_e32 v29, 0x3e9e377a, v91
	v_sub_f32_e32 v12, v12, v16
	v_add_f32_e32 v16, v25, v15
	ds_write2_b32 v93, v50, v51 offset0:20 offset1:30
	v_add_f32_e32 v36, v14, v28
	ds_write2_b32 v98, v16, v12 offset0:40 offset1:50
	v_sub_f32_e32 v12, v14, v28
	v_sub_f32_e32 v14, v49, v29
	ds_write2_b32 v98, v12, v14 offset0:60 offset1:70
	v_sub_f32_e32 v12, v25, v15
	ds_write2_b32 v98, v27, v12 offset0:80 offset1:90
	v_sub_f32_e32 v12, v61, v66
	v_sub_f32_e32 v14, v77, v43
	v_add_f32_e32 v12, v12, v14
	v_sub_f32_e32 v14, v21, v22
	v_sub_f32_e32 v15, v24, v23
	ds_write2_b32 v98, v35, v36 offset1:10
	v_add_f32_e32 v35, v49, v29
	v_add_f32_e32 v14, v14, v15
	v_sub_f32_e32 v15, v7, v40
	v_sub_f32_e32 v16, v73, v32
	v_add_f32_e32 v31, v40, v32
	ds_write2_b32 v98, v35, v100 offset0:20 offset1:30
	v_add_f32_e32 v15, v15, v16
	v_mul_u32_u24_e32 v16, 0x190, v19
	v_lshlrev_b32_e32 v19, 2, v20
	v_add_f32_e32 v28, v22, v23
	v_fma_f32 v100, -0.5, v31, v57
	v_sub_f32_e32 v31, v21, v24
	v_add3_u32 v96, 0, v16, v19
	v_add_f32_e32 v19, v66, v43
	v_fma_f32 v97, -0.5, v28, v56
	v_sub_f32_e32 v28, v7, v73
	v_fmamk_f32 v103, v31, 0x3f737871, v100
	v_sub_f32_e32 v35, v22, v23
	v_add_f32_e32 v16, v13, v61
	v_fma_f32 v19, -0.5, v19, v13
	v_sub_f32_e32 v20, v60, v33
	v_add_f32_e32 v27, v56, v21
	v_fmamk_f32 v99, v28, 0xbf737871, v97
	v_sub_f32_e32 v29, v40, v32
	v_fmac_f32_e32 v103, 0x3f167918, v35
	v_add_f32_e32 v16, v16, v66
	v_fmamk_f32 v25, v20, 0xbf737871, v19
	v_sub_f32_e32 v26, v42, v41
	v_add_f32_e32 v27, v27, v22
	v_fmac_f32_e32 v99, 0xbf167918, v29
	v_fmac_f32_e32 v103, 0x3e9e377a, v15
	v_add_f32_e32 v16, v16, v43
	v_fmac_f32_e32 v25, 0xbf167918, v26
	v_add_f32_e32 v27, v27, v23
	v_fmac_f32_e32 v99, 0x3e9e377a, v14
	v_mul_f32_e32 v36, 0xbf167918, v103
	v_add_f32_e32 v16, v16, v77
	v_fmac_f32_e32 v25, 0x3e9e377a, v12
	v_add_f32_e32 v27, v27, v24
	v_fmac_f32_e32 v36, 0x3f4f1bbd, v99
	v_add_f32_e32 v37, v16, v27
	v_add_f32_e32 v38, v25, v36
	ds_write2_b32 v96, v37, v38 offset1:10
	v_add_f32_e32 v37, v61, v77
	v_fmac_f32_e32 v13, -0.5, v37
	v_sub_f32_e32 v37, v66, v61
	v_sub_f32_e32 v38, v43, v77
	v_add_f32_e32 v37, v37, v38
	v_fmamk_f32 v38, v26, 0x3f737871, v13
	v_fmac_f32_e32 v13, 0xbf737871, v26
	v_fmac_f32_e32 v38, 0xbf167918, v20
	;; [unrolled: 1-line block ×5, first 2 shown]
	v_add_f32_e32 v37, v21, v24
	v_sub_f32_e32 v108, v4, v18
	v_sub_f32_e32 v109, v2, v5
	;; [unrolled: 1-line block ×4, first 2 shown]
	v_fmac_f32_e32 v56, -0.5, v37
	v_add_f32_e32 v112, v2, v4
	v_add_f32_e32 v2, v30, v3
	v_sub_f32_e32 v21, v22, v21
	v_sub_f32_e32 v22, v23, v24
	v_fmamk_f32 v104, v29, 0x3f737871, v56
	v_fmac_f32_e32 v56, 0xbf737871, v29
	v_add_f32_e32 v2, v2, v6
	v_add_f32_e32 v21, v21, v22
	v_fmac_f32_e32 v104, 0xbf167918, v28
	v_fmac_f32_e32 v56, 0x3f167918, v28
	v_add_f32_e32 v113, v2, v17
	v_add_f32_e32 v2, v0, v62
	v_fmac_f32_e32 v104, 0x3e9e377a, v21
	v_fmac_f32_e32 v56, 0x3e9e377a, v21
	v_add_f32_e32 v21, v7, v73
	v_add_f32_e32 v2, v2, v80
	;; [unrolled: 1-line block ×3, first 2 shown]
	v_fmac_f32_e32 v57, -0.5, v21
	v_fmac_f32_e32 v100, 0xbf737871, v31
	v_mul_f32_e32 v111, 0x3f4f1bbd, v111
	v_add_f32_e32 v2, v2, v87
	v_sub_f32_e32 v7, v40, v7
	v_sub_f32_e32 v21, v32, v73
	v_fmamk_f32 v106, v35, 0xbf737871, v57
	v_fmac_f32_e32 v97, 0x3f737871, v28
	v_fmac_f32_e32 v100, 0xbf167918, v35
	;; [unrolled: 1-line block ×3, first 2 shown]
	v_add_f32_e32 v107, v2, v90
	v_add_f32_e32 v2, v80, v87
	v_sub_f32_e32 v80, v80, v62
	v_add_f32_e32 v62, v62, v90
	v_add_f32_e32 v7, v7, v21
	v_fmac_f32_e32 v106, 0x3f167918, v31
	v_fmac_f32_e32 v57, 0x3f737871, v35
	;; [unrolled: 1-line block ×5, first 2 shown]
	v_fma_f32 v115, -0.5, v2, v0
	v_fma_f32 v0, -0.5, v62, v0
	v_fmac_f32_e32 v106, 0x3e9e377a, v7
	v_fmac_f32_e32 v57, 0xbf167918, v31
	;; [unrolled: 1-line block ×4, first 2 shown]
	v_mul_f32_e32 v14, 0xbf167918, v100
	v_sub_f32_e32 v87, v87, v90
	v_fmamk_f32 v62, v109, 0xbf737871, v0
	v_fmac_f32_e32 v0, 0x3f737871, v109
	v_fmac_f32_e32 v57, 0x3e9e377a, v7
	v_mul_f32_e32 v7, 0xbf737871, v106
	v_fmac_f32_e32 v19, 0x3e9e377a, v12
	v_fmac_f32_e32 v14, 0xbf4f1bbd, v97
	v_add_f32_e32 v80, v80, v87
	v_fmac_f32_e32 v62, 0x3f167918, v108
	v_fmac_f32_e32 v0, 0xbf167918, v108
	;; [unrolled: 1-line block ×3, first 2 shown]
	v_mul_f32_e32 v21, 0xbf737871, v57
	v_sub_f32_e32 v12, v16, v27
	v_add_f32_e32 v15, v19, v14
	v_fmac_f32_e32 v62, 0x3e9e377a, v80
	v_fmac_f32_e32 v0, 0x3e9e377a, v80
	v_mul_f32_e32 v80, 0x3e9e377a, v116
	v_mul_f32_e32 v59, 0xbe9e377a, v59
	v_fmac_f32_e32 v21, 0xbe9e377a, v56
	v_add_f32_e32 v22, v38, v7
	ds_write2_b32 v96, v15, v12 offset0:40 offset1:50
	v_sub_f32_e32 v12, v25, v36
	v_sub_f32_e32 v7, v38, v7
	v_fmac_f32_e32 v80, 0x3f737871, v114
	v_fmac_f32_e32 v59, 0x3f737871, v58
	v_add_f32_e32 v23, v13, v21
	ds_write2_b32 v96, v12, v7 offset0:60 offset1:70
	v_sub_f32_e32 v7, v13, v21
	v_sub_f32_e32 v12, v19, v14
	v_fmamk_f32 v117, v108, 0x3f737871, v115
	v_add_f32_e32 v58, v62, v80
	v_add_f32_e32 v87, v0, v59
	v_fmac_f32_e32 v115, 0xbf737871, v108
	ds_write2_b32 v96, v22, v23 offset0:20 offset1:30
	ds_write2_b32 v96, v7, v12 offset0:80 offset1:90
	s_waitcnt lgkmcnt(0)
	s_barrier
	v_lshl_add_u32 v44, v8, 2, 0
	v_add_u32_e32 v39, 0x800, v70
	v_add_u32_e32 v45, 0x1000, v70
	;; [unrolled: 1-line block ×11, first 2 shown]
	ds_read_b32 v38, v75
	ds_read_b32 v36, v44 offset:1920
	ds_read_b32 v37, v71
	ds_read_b32 v72, v70 offset:13920
	ds_read2_b32 v[2:3], v70 offset1:120
	ds_read2_b32 v[30:31], v39 offset0:88 offset1:208
	ds_read2_b32 v[22:23], v45 offset0:56 offset1:176
	;; [unrolled: 1-line block ×12, first 2 shown]
	s_waitcnt lgkmcnt(0)
	s_barrier
	ds_write2_b32 v93, v58, v87 offset0:20 offset1:30
	v_fmac_f32_e32 v115, 0xbf167918, v109
	v_mul_f32_e32 v58, 0xbf4f1bbd, v95
	v_fmac_f32_e32 v117, 0x3f167918, v109
	v_fmac_f32_e32 v115, 0x3e9e377a, v112
	;; [unrolled: 1-line block ×4, first 2 shown]
	v_sub_f32_e32 v87, v107, v113
	v_add_f32_e32 v90, v115, v58
	v_sub_f32_e32 v0, v0, v59
	v_sub_f32_e32 v58, v115, v58
	ds_write2_b32 v93, v90, v87 offset0:40 offset1:50
	v_sub_f32_e32 v87, v117, v111
	v_sub_f32_e32 v62, v62, v80
	ds_write2_b32 v93, v0, v58 offset0:80 offset1:90
	v_sub_f32_e32 v0, v67, v86
	v_add_f32_e32 v59, v68, v78
	v_add_f32_e32 v67, v63, v82
	ds_write2_b32 v93, v87, v62 offset0:60 offset1:70
	v_sub_f32_e32 v58, v69, v81
	v_fma_f32 v59, -0.5, v59, v1
	v_add_f32_e32 v62, v1, v63
	v_fmac_f32_e32 v1, -0.5, v67
	v_mul_f32_e32 v65, 0xbe9e377a, v65
	v_sub_f32_e32 v67, v68, v63
	v_sub_f32_e32 v69, v78, v82
	v_fmac_f32_e32 v65, 0x3f737871, v64
	v_fmamk_f32 v64, v58, 0xbf737871, v1
	v_fmac_f32_e32 v1, 0x3f737871, v58
	v_add_f32_e32 v67, v67, v69
	v_fmac_f32_e32 v1, 0xbf167918, v0
	v_fmac_f32_e32 v1, 0x3e9e377a, v67
	v_add_f32_e32 v69, v1, v65
	v_sub_f32_e32 v1, v1, v65
	v_add_f32_e32 v62, v62, v68
	v_sub_f32_e32 v63, v63, v68
	v_sub_f32_e32 v65, v82, v78
	v_add_f32_e32 v62, v62, v78
	v_add_f32_e32 v63, v63, v65
	;; [unrolled: 1-line block ×3, first 2 shown]
	v_fmamk_f32 v78, v0, 0x3f737871, v59
	v_fmac_f32_e32 v59, 0xbf737871, v0
	v_add_f32_e32 v65, v65, v83
	v_fmac_f32_e32 v64, 0x3f167918, v0
	v_fmac_f32_e32 v59, 0xbf167918, v58
	v_mul_f32_e32 v0, 0xbf4f1bbd, v88
	v_add_f32_e32 v62, v62, v82
	v_add_f32_e32 v65, v65, v85
	v_mul_f32_e32 v68, 0x3f4f1bbd, v102
	v_fmac_f32_e32 v78, 0x3f167918, v58
	v_fmac_f32_e32 v64, 0x3e9e377a, v67
	v_mul_f32_e32 v67, 0x3e9e377a, v92
	v_fmac_f32_e32 v59, 0x3e9e377a, v63
	v_fmac_f32_e32 v0, 0x3f167918, v84
	v_add_f32_e32 v118, v107, v113
	v_add_f32_e32 v119, v117, v111
	v_fmac_f32_e32 v68, 0x3f167918, v101
	v_fmac_f32_e32 v78, 0x3e9e377a, v63
	v_add_f32_e32 v79, v62, v65
	v_fmac_f32_e32 v67, 0x3f737871, v91
	v_sub_f32_e32 v58, v62, v65
	v_add_f32_e32 v62, v59, v0
	ds_write2_b32 v93, v118, v119 offset1:10
	ds_write2_b32 v98, v62, v58 offset0:40 offset1:50
	v_sub_f32_e32 v58, v78, v68
	v_sub_f32_e32 v62, v64, v67
	;; [unrolled: 1-line block ×3, first 2 shown]
	ds_write2_b32 v98, v58, v62 offset0:60 offset1:70
	ds_write2_b32 v98, v1, v0 offset0:80 offset1:90
	v_sub_f32_e32 v1, v66, v43
	v_sub_f32_e32 v43, v60, v42
	;; [unrolled: 1-line block ×3, first 2 shown]
	v_add_f32_e32 v43, v43, v58
	v_add_f32_e32 v58, v42, v41
	v_sub_f32_e32 v0, v61, v77
	v_fma_f32 v59, -0.5, v58, v53
	v_fmamk_f32 v61, v0, 0x3f737871, v59
	v_fmac_f32_e32 v59, 0xbf737871, v0
	v_fmac_f32_e32 v61, 0x3f167918, v1
	;; [unrolled: 1-line block ×5, first 2 shown]
	v_add_f32_e32 v43, v53, v60
	v_add_f32_e32 v58, v60, v33
	;; [unrolled: 1-line block ×3, first 2 shown]
	v_fmac_f32_e32 v53, -0.5, v58
	v_add_f32_e32 v43, v43, v41
	v_add_f32_e32 v43, v43, v33
	v_sub_f32_e32 v33, v41, v33
	v_fmamk_f32 v41, v1, 0xbf737871, v53
	v_fmac_f32_e32 v53, 0x3f737871, v1
	v_fmac_f32_e32 v41, 0x3f167918, v0
	;; [unrolled: 1-line block ×3, first 2 shown]
	v_add_f32_e32 v0, v105, v40
	v_add_f32_e32 v0, v0, v32
	v_sub_f32_e32 v42, v42, v60
	v_add_f32_e32 v32, v0, v73
	v_mul_f32_e32 v40, 0x3f4f1bbd, v103
	v_add_u32_e32 v0, 0xffffff9c, v8
	v_add_f32_e32 v80, v78, v68
	v_add_f32_e32 v33, v42, v33
	v_fmac_f32_e32 v40, 0x3f167918, v99
	v_cndmask_b32_e32 v58, v0, v8, vcc
	v_mul_f32_e32 v42, 0x3e9e377a, v106
	v_mul_f32_e32 v57, 0xbe9e377a, v57
	ds_write2_b32 v98, v79, v80 offset1:10
	v_add_f32_e32 v79, v64, v67
	v_fmac_f32_e32 v41, 0x3e9e377a, v33
	v_fmac_f32_e32 v53, 0x3e9e377a, v33
	;; [unrolled: 1-line block ×4, first 2 shown]
	v_mul_i32_i24_e32 v0, 5, v58
	v_mov_b32_e32 v1, 0
	v_mul_f32_e32 v56, 0xbf4f1bbd, v100
	v_add_f32_e32 v33, v43, v32
	v_sub_f32_e32 v43, v43, v32
	v_add_f32_e32 v32, v61, v40
	ds_write2_b32 v98, v79, v69 offset0:20 offset1:30
	v_fmac_f32_e32 v56, 0x3f167918, v97
	ds_write2_b32 v96, v33, v32 offset1:10
	v_lshl_add_u64 v[32:33], v[0:1], 3, s[4:5]
	v_sub_f32_e32 v0, v61, v40
	v_add_f32_e32 v40, v41, v42
	v_sub_f32_e32 v41, v41, v42
	v_add_f32_e32 v42, v53, v57
	;; [unrolled: 2-line block ×3, first 2 shown]
	v_sub_f32_e32 v56, v59, v56
	ds_write2_b32 v96, v40, v42 offset0:20 offset1:30
	ds_write2_b32 v96, v57, v43 offset0:40 offset1:50
	;; [unrolled: 1-line block ×4, first 2 shown]
	v_mov_b32_e32 v0, 41
	v_mul_lo_u16_sdwa v0, v52, v0 dst_sel:DWORD dst_unused:UNUSED_PAD src0_sel:BYTE_0 src1_sel:DWORD
	v_lshrrev_b16_e32 v0, 12, v0
	v_mul_lo_u16_e32 v40, 0x64, v0
	v_sub_u16_e32 v40, v52, v40
	v_mov_b32_e32 v41, 5
	v_mul_u32_u24_sdwa v41, v40, v41 dst_sel:DWORD dst_unused:UNUSED_PAD src0_sel:BYTE_0 src1_sel:DWORD
	v_lshlrev_b32_e32 v59, 3, v41
	s_waitcnt lgkmcnt(0)
	s_barrier
	global_load_dwordx4 v[64:67], v[32:33], off offset:720
	global_load_dwordx4 v[78:81], v59, s[4:5] offset:720
	v_lshrrev_b16_e32 v41, 2, v9
	v_mul_u32_u24_e32 v41, 0x147b, v41
	v_lshrrev_b32_e32 v42, 17, v41
	v_mul_lo_u16_e32 v41, 0x64, v42
	v_sub_u16_e32 v41, v9, v41
	v_mul_u32_u24_e32 v43, 5, v41
	v_lshlrev_b32_e32 v69, 3, v43
	global_load_dwordx4 v[82:85], v69, s[4:5] offset:720
	v_lshrrev_b16_e32 v43, 2, v74
	v_mul_u32_u24_e32 v43, 0x147b, v43
	v_lshrrev_b32_e32 v57, 17, v43
	v_mul_lo_u16_e32 v43, 0x64, v57
	v_sub_u16_e32 v53, v74, v43
	v_add_u32_e32 v90, 0x1e0, v8
	v_mul_u32_u24_e32 v43, 5, v53
	v_lshlrev_b32_e32 v73, 3, v43
	v_lshrrev_b16_e32 v43, 2, v90
	v_mul_u32_u24_e32 v43, 0x147b, v43
	v_lshrrev_b32_e32 v43, 17, v43
	global_load_dwordx4 v[86:89], v73, s[4:5] offset:720
	v_mul_lo_u16_e32 v52, 0x64, v43
	v_sub_u16_e32 v52, v90, v52
	v_mul_u32_u24_e32 v56, 5, v52
	v_lshlrev_b32_e32 v68, 3, v56
	global_load_dwordx4 v[92:95], v68, s[4:5] offset:720
	global_load_dwordx4 v[96:99], v[32:33], off offset:736
	global_load_dwordx4 v[100:103], v59, s[4:5] offset:736
	global_load_dwordx4 v[104:107], v69, s[4:5] offset:736
	global_load_dwordx4 v[112:115], v73, s[4:5] offset:736
	global_load_dwordx4 v[116:119], v68, s[4:5] offset:736
	ds_read2_b32 v[60:61], v39 offset0:88 offset1:208
	ds_read2_b32 v[108:109], v45 offset0:56 offset1:176
	global_load_dwordx2 v[120:121], v[32:33], off offset:752
	v_cmp_lt_u32_e32 vcc, s2, v8
	v_mul_u32_u24_e32 v0, 0x960, v0
	s_mov_b32 s2, 0x5040100
	s_waitcnt vmcnt(10) lgkmcnt(1)
	v_mul_f32_e32 v62, v60, v65
	s_waitcnt lgkmcnt(0)
	v_mul_f32_e32 v56, v109, v67
	s_waitcnt vmcnt(9)
	v_mul_f32_e32 v32, v61, v79
	v_fmac_f32_e32 v62, v30, v64
	v_mul_f32_e32 v30, v30, v65
	v_fmac_f32_e32 v56, v23, v66
	;; [unrolled: 2-line block ×3, first 2 shown]
	v_mul_f32_e32 v31, v31, v79
	v_fma_f32 v30, v60, v64, -v30
	v_fma_f32 v23, v109, v66, -v23
	ds_read2_b32 v[66:67], v51 offset0:40 offset1:160
	v_fma_f32 v31, v61, v78, -v31
	global_load_dwordx2 v[60:61], v59, s[4:5] offset:752
	global_load_dwordx2 v[122:123], v68, s[4:5] offset:752
	;; [unrolled: 1-line block ×4, first 2 shown]
	ds_read2_b32 v[78:79], v47 offset0:72 offset1:192
	s_waitcnt lgkmcnt(1)
	v_mul_f32_e32 v63, v66, v81
	v_fmac_f32_e32 v63, v28, v80
	v_mul_f32_e32 v28, v28, v81
	v_fma_f32 v65, v66, v80, -v28
	ds_read2_b32 v[80:81], v35 offset0:24 offset1:144
	s_waitcnt vmcnt(12)
	v_mul_f32_e32 v28, v29, v85
	v_mul_f32_e32 v68, v67, v85
	v_fma_f32 v77, v67, v84, -v28
	s_waitcnt lgkmcnt(1)
	v_mul_f32_e32 v67, v78, v83
	v_fmac_f32_e32 v67, v26, v82
	v_mul_f32_e32 v26, v26, v83
	v_fma_f32 v73, v78, v82, -v26
	s_waitcnt vmcnt(11)
	v_mul_f32_e32 v26, v27, v87
	v_mul_f32_e32 v28, v79, v87
	v_fma_f32 v33, v79, v86, -v26
	s_waitcnt lgkmcnt(0)
	v_mul_f32_e32 v66, v80, v89
	s_waitcnt vmcnt(10)
	v_mul_f32_e32 v26, v108, v93
	ds_read2_b32 v[78:79], v76 offset0:8 offset1:128
	v_fmac_f32_e32 v68, v29, v84
	v_fmac_f32_e32 v66, v24, v88
	v_mul_f32_e32 v24, v24, v89
	v_fmac_f32_e32 v26, v22, v92
	v_mul_f32_e32 v22, v22, v93
	v_mul_f32_e32 v29, v81, v95
	v_fmac_f32_e32 v28, v27, v86
	v_fma_f32 v69, v80, v88, -v24
	v_fma_f32 v27, v108, v92, -v22
	v_fmac_f32_e32 v29, v25, v94
	v_mul_f32_e32 v22, v25, v95
	ds_read2_b32 v[24:25], v46 offset0:104 offset1:224
	s_waitcnt vmcnt(9) lgkmcnt(1)
	v_mul_f32_e32 v59, v78, v97
	v_fma_f32 v64, v81, v94, -v22
	v_fmac_f32_e32 v59, v20, v96
	v_mul_f32_e32 v20, v20, v97
	ds_read2_b32 v[80:81], v54 offset0:88 offset1:208
	v_fma_f32 v91, v78, v96, -v20
	s_waitcnt lgkmcnt(1)
	v_mul_f32_e32 v20, v25, v99
	v_fmac_f32_e32 v20, v13, v98
	v_mul_f32_e32 v13, v13, v99
	v_fma_f32 v22, v25, v98, -v13
	s_waitcnt vmcnt(8)
	v_mul_f32_e32 v92, v79, v101
	v_mul_f32_e32 v13, v21, v101
	v_fmac_f32_e32 v92, v21, v100
	v_fma_f32 v21, v79, v100, -v13
	v_mul_f32_e32 v13, v18, v103
	s_waitcnt lgkmcnt(0)
	v_mul_f32_e32 v82, v80, v103
	v_fma_f32 v83, v80, v102, -v13
	s_waitcnt vmcnt(7)
	v_mul_f32_e32 v80, v81, v107
	v_fmac_f32_e32 v82, v18, v102
	ds_read2_b32 v[78:79], v48 offset0:120 offset1:240
	v_fmac_f32_e32 v80, v19, v106
	v_mul_f32_e32 v13, v19, v107
	ds_read2_b32 v[18:19], v49 offset0:72 offset1:192
	v_fma_f32 v81, v81, v106, -v13
	v_mul_f32_e32 v13, v16, v105
	s_waitcnt lgkmcnt(1)
	v_mul_f32_e32 v93, v78, v105
	v_fma_f32 v94, v78, v104, -v13
	s_waitcnt vmcnt(6)
	v_mul_f32_e32 v13, v17, v113
	s_waitcnt lgkmcnt(0)
	v_mul_f32_e32 v78, v18, v115
	v_fmac_f32_e32 v93, v16, v104
	v_fma_f32 v16, v79, v112, -v13
	v_fmac_f32_e32 v78, v14, v114
	v_mul_f32_e32 v13, v14, v115
	s_waitcnt vmcnt(5)
	v_mul_f32_e32 v14, v24, v117
	v_fmac_f32_e32 v14, v12, v116
	v_mul_f32_e32 v12, v12, v117
	v_fma_f32 v12, v24, v116, -v12
	ds_read2_b32 v[24:25], v50 offset0:56 offset1:176
	ds_read2_b32 v[88:89], v55 offset0:40 offset1:160
	v_mul_f32_e32 v95, v79, v113
	v_fmac_f32_e32 v95, v17, v112
	v_fma_f32 v79, v18, v114, -v13
	v_mul_f32_e32 v13, v19, v119
	v_fmac_f32_e32 v13, v15, v118
	v_mul_f32_e32 v15, v15, v119
	s_waitcnt vmcnt(3) lgkmcnt(1)
	v_mul_f32_e32 v17, v25, v61
	v_fmac_f32_e32 v17, v7, v60
	v_mul_f32_e32 v7, v7, v61
	v_fma_f32 v86, v25, v60, -v7
	s_waitcnt vmcnt(1) lgkmcnt(0)
	v_mul_f32_e32 v7, v88, v125
	v_fmac_f32_e32 v7, v4, v124
	v_mul_f32_e32 v4, v4, v125
	v_fma_f32 v85, v88, v124, -v4
	ds_read_b32 v4, v70 offset:13920
	v_fma_f32 v19, v19, v118, -v15
	v_mul_f32_e32 v15, v24, v121
	s_waitcnt vmcnt(0)
	v_mul_f32_e32 v18, v89, v127
	v_fmac_f32_e32 v15, v6, v120
	v_mul_f32_e32 v6, v6, v121
	v_fmac_f32_e32 v18, v5, v126
	v_mul_f32_e32 v5, v5, v127
	v_fma_f32 v6, v24, v120, -v6
	v_fma_f32 v84, v89, v126, -v5
	s_waitcnt lgkmcnt(0)
	v_mul_f32_e32 v24, v4, v123
	v_mul_f32_e32 v5, v72, v123
	v_fmac_f32_e32 v24, v72, v122
	v_fma_f32 v72, v4, v122, -v5
	v_mov_b32_e32 v4, 0x960
	v_cndmask_b32_e32 v4, 0, v4, vcc
	v_lshlrev_b32_e32 v5, 2, v58
	v_add3_u32 v96, 0, v4, v5
	v_add_f32_e32 v4, v63, v82
	v_add_f32_e32 v25, v3, v63
	v_fmac_f32_e32 v3, -0.5, v4
	v_sub_f32_e32 v4, v65, v83
	v_fmamk_f32 v58, v4, 0xbf5db3d7, v3
	v_fmac_f32_e32 v3, 0x3f5db3d7, v4
	v_add_f32_e32 v4, v92, v17
	v_add_f32_e32 v60, v32, v92
	v_fmac_f32_e32 v32, -0.5, v4
	v_sub_f32_e32 v4, v21, v86
	v_fmamk_f32 v97, v4, 0xbf5db3d7, v32
	v_fmac_f32_e32 v32, 0x3f5db3d7, v4
	;; [unrolled: 6-line block ×3, first 2 shown]
	v_add_f32_e32 v4, v56, v20
	v_fma_f32 v21, -0.5, v4, v2
	v_mul_f32_e32 v4, 0xbf5db3d7, v31
	v_fmac_f32_e32 v4, -0.5, v32
	v_add_f32_e32 v5, v59, v15
	v_add_f32_e32 v61, v3, v4
	v_sub_f32_e32 v3, v3, v4
	v_add_f32_e32 v4, v62, v59
	v_fmac_f32_e32 v62, -0.5, v5
	v_add_f32_e32 v5, v91, v6
	v_add_f32_e32 v99, v30, v91
	v_fmac_f32_e32 v30, -0.5, v5
	v_add_f32_e32 v100, v4, v15
	v_sub_f32_e32 v15, v59, v15
	v_sub_f32_e32 v59, v91, v6
	v_fmamk_f32 v101, v15, 0x3f5db3d7, v30
	v_fmac_f32_e32 v30, 0xbf5db3d7, v15
	v_add_f32_e32 v2, v2, v56
	v_fmamk_f32 v91, v59, 0xbf5db3d7, v62
	v_sub_f32_e32 v103, v23, v22
	v_fmac_f32_e32 v62, 0x3f5db3d7, v59
	v_mul_f32_e32 v15, 0xbf5db3d7, v30
	v_add_f32_e32 v2, v2, v20
	v_mul_f32_e32 v102, 0xbf5db3d7, v101
	v_fmamk_f32 v104, v103, 0xbf5db3d7, v21
	v_fmac_f32_e32 v21, 0x3f5db3d7, v103
	v_fmac_f32_e32 v15, -0.5, v62
	v_fmac_f32_e32 v102, 0.5, v91
	v_add_f32_e32 v105, v2, v100
	v_sub_f32_e32 v2, v2, v100
	v_add_f32_e32 v59, v21, v15
	v_add_u32_e32 v100, 0x200, v96
	ds_read_b32 v89, v75
	ds_read_b32 v87, v44 offset:1920
	ds_read_b32 v88, v71
	ds_read2_b32 v[4:5], v70 offset1:120
	s_waitcnt lgkmcnt(0)
	s_barrier
	v_add_f32_e32 v106, v104, v102
	ds_write2_b32 v100, v59, v2 offset0:72 offset1:172
	v_sub_f32_e32 v2, v104, v102
	v_sub_f32_e32 v15, v21, v15
	v_add_u32_e32 v102, 0x400, v96
	ds_write2_b32 v102, v2, v15 offset0:144 offset1:244
	v_lshlrev_b32_sdwa v2, v34, v40 dst_sel:DWORD dst_unused:UNUSED_PAD src0_sel:DWORD src1_sel:BYTE_0
	v_add3_u32 v0, 0, v0, v2
	v_add_f32_e32 v2, v60, v17
	v_add_f32_e32 v15, v25, v82
	v_mul_f32_e32 v17, 0xbf5db3d7, v92
	v_fmac_f32_e32 v17, 0.5, v97
	v_add_f32_e32 v21, v15, v2
	v_sub_f32_e32 v2, v15, v2
	v_add_u32_e32 v34, 0x200, v0
	ds_write2_b32 v96, v105, v106 offset1:100
	ds_write2_b32 v34, v61, v2 offset0:72 offset1:172
	v_sub_f32_e32 v2, v58, v17
	v_add_u32_e32 v103, 0x400, v0
	ds_write2_b32 v103, v2, v3 offset0:144 offset1:244
	v_add_f32_e32 v3, v68, v80
	v_add_f32_e32 v15, v93, v7
	;; [unrolled: 1-line block ×3, first 2 shown]
	v_fmac_f32_e32 v38, -0.5, v3
	v_add_f32_e32 v3, v67, v93
	v_fmac_f32_e32 v67, -0.5, v15
	v_add_f32_e32 v15, v94, v85
	v_add_f32_e32 v104, v73, v94
	v_fmac_f32_e32 v73, -0.5, v15
	v_perm_b32 v15, v57, v42, s2
	s_movk_i32 s2, 0x960
	v_add_f32_e32 v25, v58, v17
	v_pk_mul_lo_u16 v15, v15, s2 op_sel_hi:[1,0]
	ds_write2_b32 v0, v21, v25 offset1:100
	v_add_f32_e32 v3, v3, v7
	v_sub_f32_e32 v7, v93, v7
	v_lshlrev_b32_e32 v17, 2, v41
	v_and_b32_e32 v21, 0xffe0, v15
	v_add3_u32 v93, 0, v21, v17
	v_add_f32_e32 v2, v2, v80
	v_sub_f32_e32 v17, v94, v85
	v_fmamk_f32 v105, v7, 0x3f5db3d7, v73
	v_fmac_f32_e32 v73, 0xbf5db3d7, v7
	v_fmamk_f32 v94, v17, 0xbf5db3d7, v67
	v_sub_f32_e32 v25, v77, v81
	v_add_f32_e32 v41, v2, v3
	v_fmac_f32_e32 v67, 0x3f5db3d7, v17
	v_sub_f32_e32 v2, v2, v3
	v_mul_f32_e32 v3, 0xbf5db3d7, v73
	v_mul_f32_e32 v21, 0xbf5db3d7, v105
	v_fmamk_f32 v40, v25, 0xbf5db3d7, v38
	v_fmac_f32_e32 v38, 0x3f5db3d7, v25
	v_fmac_f32_e32 v3, -0.5, v67
	v_fmac_f32_e32 v21, 0.5, v94
	v_add_f32_e32 v7, v38, v3
	v_add_u32_e32 v106, 0x200, v93
	ds_write2_b32 v106, v7, v2 offset0:72 offset1:172
	v_sub_f32_e32 v2, v40, v21
	v_sub_f32_e32 v3, v38, v3
	v_add_u32_e32 v107, 0x400, v93
	ds_write2_b32 v107, v2, v3 offset0:144 offset1:244
	v_add_f32_e32 v3, v66, v78
	v_add_f32_e32 v7, v95, v18
	;; [unrolled: 1-line block ×3, first 2 shown]
	v_fmac_f32_e32 v37, -0.5, v3
	v_add_f32_e32 v3, v28, v95
	v_fmac_f32_e32 v28, -0.5, v7
	v_add_f32_e32 v7, v16, v84
	v_add_f32_e32 v108, v33, v16
	v_fmac_f32_e32 v33, -0.5, v7
	v_sub_f32_e32 v7, v95, v18
	v_lshrrev_b32_e32 v15, 16, v15
	v_lshlrev_b32_e32 v17, 2, v53
	v_add_f32_e32 v3, v3, v18
	v_add3_u32 v95, 0, v15, v17
	v_add_f32_e32 v2, v2, v78
	v_sub_f32_e32 v15, v16, v84
	v_fmamk_f32 v111, v7, 0x3f5db3d7, v33
	v_fmac_f32_e32 v33, 0xbf5db3d7, v7
	v_add_f32_e32 v42, v40, v21
	v_fmamk_f32 v109, v15, 0xbf5db3d7, v28
	v_sub_f32_e32 v17, v69, v79
	v_add_f32_e32 v21, v2, v3
	v_fmac_f32_e32 v28, 0x3f5db3d7, v15
	v_sub_f32_e32 v2, v2, v3
	v_mul_f32_e32 v3, 0xbf5db3d7, v33
	v_mul_f32_e32 v16, 0xbf5db3d7, v111
	v_fmamk_f32 v18, v17, 0xbf5db3d7, v37
	v_fmac_f32_e32 v37, 0x3f5db3d7, v17
	v_fmac_f32_e32 v3, -0.5, v28
	v_fmac_f32_e32 v16, 0.5, v109
	v_add_f32_e32 v7, v37, v3
	v_add_u32_e32 v112, 0x200, v95
	ds_write2_b32 v93, v41, v42 offset1:100
	ds_write2_b32 v112, v7, v2 offset0:72 offset1:172
	v_sub_f32_e32 v2, v18, v16
	v_sub_f32_e32 v3, v37, v3
	v_add_u32_e32 v37, 0x400, v95
	ds_write2_b32 v37, v2, v3 offset0:144 offset1:244
	v_add_f32_e32 v3, v29, v13
	v_add_f32_e32 v7, v14, v24
	;; [unrolled: 1-line block ×3, first 2 shown]
	v_fmac_f32_e32 v36, -0.5, v3
	v_add_f32_e32 v3, v26, v14
	v_fmac_f32_e32 v26, -0.5, v7
	v_add_f32_e32 v7, v12, v72
	v_add_f32_e32 v113, v27, v12
	v_fmac_f32_e32 v27, -0.5, v7
	v_sub_f32_e32 v7, v14, v24
	v_add_f32_e32 v3, v3, v24
	v_mul_u32_u24_e32 v14, 0x960, v43
	v_lshlrev_b32_e32 v15, 2, v52
	v_add_f32_e32 v2, v2, v13
	v_sub_f32_e32 v12, v12, v72
	v_fmamk_f32 v116, v7, 0x3f5db3d7, v27
	v_fmac_f32_e32 v27, 0xbf5db3d7, v7
	v_add3_u32 v114, 0, v14, v15
	v_fmamk_f32 v115, v12, 0xbf5db3d7, v26
	v_sub_f32_e32 v15, v64, v19
	v_add_f32_e32 v17, v2, v3
	v_fmac_f32_e32 v26, 0x3f5db3d7, v12
	v_sub_f32_e32 v2, v2, v3
	v_mul_f32_e32 v3, 0xbf5db3d7, v27
	v_add_f32_e32 v25, v18, v16
	v_mul_f32_e32 v14, 0xbf5db3d7, v116
	v_fmamk_f32 v16, v15, 0xbf5db3d7, v36
	v_fmac_f32_e32 v36, 0x3f5db3d7, v15
	v_fmac_f32_e32 v3, -0.5, v26
	v_fmac_f32_e32 v14, 0.5, v115
	v_add_f32_e32 v7, v36, v3
	v_add_u32_e32 v117, 0x200, v114
	ds_write2_b32 v95, v21, v25 offset1:100
	ds_write2_b32 v117, v7, v2 offset0:72 offset1:172
	v_sub_f32_e32 v2, v16, v14
	v_sub_f32_e32 v3, v36, v3
	v_add_u32_e32 v36, 0x400, v114
	ds_write2_b32 v36, v2, v3 offset0:144 offset1:244
	v_add_f32_e32 v2, v4, v23
	v_add_f32_e32 v118, v2, v22
	;; [unrolled: 1-line block ×3, first 2 shown]
	v_mul_f32_e32 v101, 0.5, v101
	v_add_f32_e32 v18, v16, v14
	v_sub_f32_e32 v119, v56, v20
	v_fmac_f32_e32 v101, 0x3f5db3d7, v91
	v_fma_f32 v91, -0.5, v2, v4
	ds_write2_b32 v114, v17, v18 offset1:100
	v_add_f32_e32 v99, v99, v6
	s_waitcnt lgkmcnt(0)
	s_barrier
	ds_read2_b32 v[52:53], v70 offset1:120
	ds_read2_b32 v[56:57], v39 offset0:88 offset1:208
	ds_read2_b32 v[2:3], v45 offset0:56 offset1:176
	;; [unrolled: 1-line block ×12, first 2 shown]
	ds_read_b32 v38, v75
	ds_read_b32 v4, v44 offset:1920
	ds_read_b32 v18, v71
	ds_read_b32 v12, v70 offset:13920
	v_fmamk_f32 v75, v119, 0x3f5db3d7, v91
	v_mul_f32_e32 v30, -0.5, v30
	v_add_f32_e32 v120, v118, v99
	v_add_f32_e32 v121, v75, v101
	v_fmac_f32_e32 v91, 0xbf5db3d7, v119
	v_fmac_f32_e32 v30, 0x3f5db3d7, v62
	s_waitcnt lgkmcnt(0)
	s_barrier
	ds_write2_b32 v96, v120, v121 offset1:100
	v_sub_f32_e32 v62, v118, v99
	v_add_f32_e32 v96, v91, v30
	ds_write2_b32 v100, v96, v62 offset0:72 offset1:172
	v_sub_f32_e32 v62, v75, v101
	v_sub_f32_e32 v30, v91, v30
	ds_write2_b32 v102, v62, v30 offset0:144 offset1:244
	v_add_f32_e32 v62, v65, v83
	v_add_f32_e32 v30, v5, v65
	v_fmac_f32_e32 v5, -0.5, v62
	v_sub_f32_e32 v62, v63, v82
	v_mul_f32_e32 v65, 0.5, v92
	v_add_f32_e32 v30, v30, v83
	v_add_f32_e32 v63, v98, v86
	v_fmac_f32_e32 v65, 0x3f5db3d7, v97
	v_fmamk_f32 v75, v62, 0x3f5db3d7, v5
	v_add_f32_e32 v82, v30, v63
	v_add_f32_e32 v83, v75, v65
	ds_write2_b32 v0, v82, v83 offset1:100
	v_mul_f32_e32 v0, -0.5, v31
	v_fmac_f32_e32 v5, 0xbf5db3d7, v62
	v_fmac_f32_e32 v0, 0x3f5db3d7, v32
	v_add_f32_e32 v31, v5, v0
	v_sub_f32_e32 v0, v5, v0
	v_sub_f32_e32 v5, v75, v65
	ds_write2_b32 v103, v5, v0 offset0:144 offset1:244
	v_add_f32_e32 v5, v77, v81
	v_add_f32_e32 v0, v89, v77
	v_fmac_f32_e32 v89, -0.5, v5
	v_sub_f32_e32 v5, v68, v80
	v_sub_f32_e32 v30, v30, v63
	v_fmamk_f32 v32, v5, 0x3f5db3d7, v89
	v_fmac_f32_e32 v89, 0xbf5db3d7, v5
	v_mul_f32_e32 v5, -0.5, v73
	ds_write2_b32 v34, v31, v30 offset0:72 offset1:172
	v_add_f32_e32 v0, v0, v81
	v_add_f32_e32 v30, v104, v85
	v_mul_f32_e32 v31, 0.5, v105
	v_fmac_f32_e32 v5, 0x3f5db3d7, v67
	v_fmac_f32_e32 v31, 0x3f5db3d7, v94
	v_add_f32_e32 v34, v0, v30
	v_sub_f32_e32 v0, v0, v30
	v_add_f32_e32 v30, v89, v5
	ds_write2_b32 v106, v30, v0 offset0:72 offset1:172
	v_sub_f32_e32 v0, v32, v31
	v_sub_f32_e32 v5, v89, v5
	ds_write2_b32 v107, v0, v5 offset0:144 offset1:244
	v_add_f32_e32 v5, v69, v79
	v_add_f32_e32 v0, v88, v69
	v_fmac_f32_e32 v88, -0.5, v5
	v_sub_f32_e32 v5, v66, v78
	v_add_f32_e32 v62, v32, v31
	v_fmamk_f32 v32, v5, 0x3f5db3d7, v88
	v_fmac_f32_e32 v88, 0xbf5db3d7, v5
	v_mul_f32_e32 v5, -0.5, v33
	v_add_f32_e32 v0, v0, v79
	v_add_f32_e32 v30, v108, v84
	v_fmac_f32_e32 v5, 0x3f5db3d7, v28
	ds_write2_b32 v93, v34, v62 offset1:100
	v_add_f32_e32 v34, v0, v30
	v_sub_f32_e32 v0, v0, v30
	v_add_f32_e32 v28, v88, v5
	ds_write2_b32 v112, v28, v0 offset0:72 offset1:172
	v_add_f32_e32 v28, v87, v64
	v_mul_f32_e32 v31, 0.5, v111
	v_add_f32_e32 v28, v28, v19
	v_add_f32_e32 v19, v64, v19
	v_fmac_f32_e32 v31, 0x3f5db3d7, v109
	v_fmac_f32_e32 v87, -0.5, v19
	v_sub_f32_e32 v13, v29, v13
	v_mul_f32_e32 v29, 0.5, v116
	v_mul_f32_e32 v27, -0.5, v27
	v_add_f32_e32 v62, v32, v31
	v_sub_f32_e32 v0, v32, v31
	v_sub_f32_e32 v5, v88, v5
	v_fmamk_f32 v19, v13, 0x3f5db3d7, v87
	v_fmac_f32_e32 v87, 0xbf5db3d7, v13
	v_add_f32_e32 v13, v113, v72
	v_fmac_f32_e32 v29, 0x3f5db3d7, v115
	s_mov_b32 s2, -0.5
	v_fmac_f32_e32 v27, 0x3f5db3d7, v26
	ds_write2_b32 v95, v34, v62 offset1:100
	v_add_f32_e32 v26, v28, v13
	v_sub_f32_e32 v13, v28, v13
	v_add_f32_e32 v28, v19, v29
	v_sub_f32_e32 v19, v19, v29
	;; [unrolled: 2-line block ×3, first 2 shown]
	ds_write2_b32 v37, v0, v5 offset0:144 offset1:244
	ds_write2_b32 v114, v26, v28 offset1:100
	ds_write2_b32 v117, v29, v13 offset0:72 offset1:172
	ds_write2_b32 v36, v19, v27 offset0:144 offset1:244
	s_waitcnt lgkmcnt(0)
	s_barrier
	s_and_saveexec_b64 s[14:15], s[0:1]
	s_cbranch_execz .LBB0_13
; %bb.12:
	v_mul_u32_u24_e32 v0, 5, v90
	v_lshlrev_b32_e32 v0, 3, v0
	v_lshl_add_u64 v[36:37], s[4:5], 0, v[0:1]
	v_mul_u32_u24_e32 v0, 5, v74
	v_lshlrev_b32_e32 v0, 3, v0
	v_lshl_add_u64 v[62:63], s[4:5], 0, v[0:1]
	;; [unrolled: 3-line block ×3, first 2 shown]
	v_mov_b32_e32 v0, 0xfffff8f8
	v_mad_u32_u24 v0, v90, 5, v0
	v_lshl_add_u64 v[68:69], v[0:1], 3, s[4:5]
	v_mul_u32_u24_e32 v0, 5, v8
	v_lshlrev_b32_e32 v0, 3, v0
	s_mov_b64 s[0:1], 0x1270
	v_lshl_add_u64 v[26:27], s[4:5], 0, v[0:1]
	v_lshl_add_u64 v[28:29], v[26:27], 0, s[0:1]
	v_add_co_u32_e32 v26, vcc, s12, v26
	v_mul_i32_i24_e32 v13, 0xffffffdc, v9
	s_nop 0
	v_addc_co_u32_e32 v27, vcc, 0, v27, vcc
	global_load_dwordx4 v[64:67], v[26:27], off offset:624
	global_load_dwordx4 v[92:95], v[28:29], off offset:16
	global_load_dwordx2 v[82:83], v[28:29], off offset:32
	ds_read2_b32 v[34:35], v35 offset0:24 offset1:144
	ds_read2_b32 v[32:33], v49 offset0:72 offset1:192
	;; [unrolled: 1-line block ×4, first 2 shown]
	ds_read_b32 v28, v70 offset:13920
	ds_read_b32 v5, v44 offset:1920
	ds_read_b32 v19, v71
	ds_read2_b32 v[44:45], v47 offset0:72 offset1:192
	ds_read2_b32 v[48:49], v48 offset0:120 offset1:240
	;; [unrolled: 1-line block ×5, first 2 shown]
	ds_read2_b32 v[80:81], v70 offset1:120
	ds_read2_b32 v[84:85], v39 offset0:88 offset1:208
	ds_read2_b32 v[104:105], v76 offset0:8 offset1:128
	;; [unrolled: 1-line block ×3, first 2 shown]
	v_mov_b32_e32 v0, v3
	v_mov_b32_e32 v70, v3
	v_add_u32_e32 v3, v110, v13
	v_lshl_add_u64 v[114:115], v[68:69], 0, s[0:1]
	v_add_co_u32_e32 v68, vcc, s12, v68
	ds_read_b32 v39, v3
	s_nop 0
	v_addc_co_u32_e32 v69, vcc, 0, v69, vcc
	global_load_dwordx2 v[116:117], v[114:115], off offset:32
	global_load_dwordx4 v[96:99], v[114:115], off offset:16
	global_load_dwordx4 v[100:103], v[68:69], off offset:624
	v_mov_b32_e32 v112, v52
	s_waitcnt lgkmcnt(14)
	v_mov_b32_e32 v52, v27
	s_waitcnt lgkmcnt(13)
	v_mov_b32_e32 v110, v31
	v_mov_b32_e32 v106, v7
	;; [unrolled: 1-line block ×3, first 2 shown]
	s_waitcnt lgkmcnt(4)
	v_mov_b32_e32 v113, v80
	v_mov_b32_e32 v9, v1
	v_lshl_add_u64 v[50:51], v[8:9], 3, v[10:11]
	s_mov_b32 s9, s6
	s_mov_b32 s3, s6
	v_lshl_add_u64 v[54:55], v[36:37], 0, s[0:1]
	v_lshl_add_u64 v[76:77], v[62:63], 0, s[0:1]
	;; [unrolled: 1-line block ×3, first 2 shown]
	s_movk_i32 s0, 0x4000
	v_mov_b32_e32 v80, v53
	s_waitcnt vmcnt(5)
	v_pk_mul_f32 v[68:69], v[66:67], v[52:53] op_sel_hi:[1,0]
	s_waitcnt vmcnt(4)
	v_pk_mul_f32 v[110:111], v[94:95], v[110:111] op_sel_hi:[1,0]
	s_waitcnt lgkmcnt(2)
	v_pk_mul_f32 v[114:115], v[92:93], v[104:105] op_sel_hi:[1,0]
	s_waitcnt vmcnt(3) lgkmcnt(1)
	v_pk_mul_f32 v[118:119], v[82:83], v[86:87] op_sel_hi:[1,0]
	v_pk_mul_f32 v[120:121], v[64:65], v[84:85] op_sel_hi:[1,0]
	v_pk_fma_f32 v[122:123], v[0:1], v[66:67], v[68:69] op_sel:[0,0,1] op_sel_hi:[1,1,0]
	v_pk_fma_f32 v[66:67], v[70:71], v[66:67], v[68:69] op_sel:[0,0,1] op_sel_hi:[0,1,0] neg_lo:[1,0,0] neg_hi:[1,0,0]
	v_pk_fma_f32 v[68:69], v[106:107], v[94:95], v[110:111] op_sel:[0,0,1] op_sel_hi:[1,1,0]
	v_pk_fma_f32 v[70:71], v[108:109], v[94:95], v[110:111] op_sel:[0,0,1] op_sel_hi:[0,1,0] neg_lo:[1,0,0] neg_hi:[1,0,0]
	;; [unrolled: 2-line block ×4, first 2 shown]
	v_pk_fma_f32 v[108:109], v[56:57], v[64:65], v[120:121] op_sel:[0,0,1] op_sel_hi:[0,1,0]
	v_mov_b32_e32 v95, v93
	v_mov_b32_e32 v107, v83
	v_pk_fma_f32 v[64:65], v[56:57], v[64:65], v[120:121] op_sel:[0,0,1] op_sel_hi:[0,1,0] neg_lo:[1,0,0] neg_hi:[1,0,0]
	v_mov_b32_e32 v123, v67
	v_mov_b32_e32 v0, v108
	v_pk_add_f32 v[66:67], v[94:95], v[106:107]
	v_mov_b32_e32 v69, v71
	v_mov_b32_e32 v109, v65
	v_pk_add_f32 v[70:71], v[94:95], v[106:107] neg_lo:[0,1] neg_hi:[0,1]
	v_fmac_f32_e32 v0, -0.5, v66
	v_fmac_f32_e32 v65, -0.5, v67
	v_fmamk_f32 v52, v71, 0x3f5db3d7, v0
	v_fmamk_f32 v56, v70, 0xbf5db3d7, v65
	v_fmac_f32_e32 v0, 0xbf5db3d7, v71
	v_fmac_f32_e32 v65, 0x3f5db3d7, v70
	v_pk_add_f32 v[66:67], v[112:113], v[122:123]
	v_pk_add_f32 v[70:71], v[108:109], v[94:95]
	;; [unrolled: 1-line block ×4, first 2 shown]
	v_mov_b32_e32 v58, v65
	v_pk_add_f32 v[82:83], v[66:67], v[70:71]
	global_store_dwordx2 v[50:51], v[82:83], off
	v_pk_add_f32 v[82:83], v[122:123], v[68:69]
	v_pk_add_f32 v[68:69], v[122:123], v[68:69] neg_lo:[0,1] neg_hi:[0,1]
	v_pk_fma_f32 v[82:83], v[82:83], 0.5, v[112:113] op_sel_hi:[1,0,1] neg_lo:[1,0,0] neg_hi:[1,0,0]
	v_pk_mul_f32 v[68:69], v[68:69], s[6:7] op_sel_hi:[1,0]
	s_mov_b32 s7, s8
	v_pk_mul_f32 v[64:65], v[58:59], s[6:7] op_sel_hi:[0,1]
	v_pk_add_f32 v[92:93], v[82:83], v[68:69] op_sel:[0,1] op_sel_hi:[1,0] neg_lo:[0,1] neg_hi:[0,1]
	v_pk_add_f32 v[94:95], v[82:83], v[68:69] op_sel:[0,1] op_sel_hi:[1,0]
	v_pk_fma_f32 v[106:107], v[0:1], s[8:9], v[64:65] neg_lo:[0,0,1] neg_hi:[0,0,1]
	v_pk_fma_f32 v[64:65], v[0:1], s[8:9], v[64:65] op_sel_hi:[0,1,1]
	v_mov_b32_e32 v68, v92
	v_mov_b32_e32 v69, v95
	;; [unrolled: 1-line block ×3, first 2 shown]
	v_add_co_u32_e32 v64, vcc, s12, v50
	v_pk_add_f32 v[82:83], v[68:69], v[106:107]
	s_nop 0
	v_addc_co_u32_e32 v65, vcc, 0, v51, vcc
	global_store_dwordx2 v[64:65], v[82:83], off offset:704
	v_pk_mul_f32 v[82:83], v[56:57], s[6:7] op_sel_hi:[0,1]
	v_pk_fma_f32 v[108:109], v[52:53], s[2:3], v[82:83] op_sel_hi:[0,1,1] neg_lo:[0,0,1] neg_hi:[0,0,1]
	v_add_co_u32_e32 v82, vcc, s11, v50
	v_pk_add_f32 v[70:71], v[66:67], v[70:71] neg_lo:[0,1] neg_hi:[0,1]
	s_nop 0
	v_addc_co_u32_e32 v83, vcc, 0, v51, vcc
	v_add_co_u32_e32 v66, vcc, s10, v50
	v_mov_b32_e32 v95, v93
	s_nop 0
	v_addc_co_u32_e32 v67, vcc, 0, v51, vcc
	global_store_dwordx2 v[66:67], v[70:71], off offset:2112
	v_pk_add_f32 v[70:71], v[68:69], v[106:107] neg_lo:[0,1] neg_hi:[0,1]
	v_add_co_u32_e32 v68, vcc, s0, v50
	s_movk_i32 s0, 0x5000
	s_nop 0
	v_addc_co_u32_e32 v69, vcc, 0, v51, vcc
	v_pk_add_f32 v[92:93], v[94:95], v[108:109]
	global_store_dwordx2 v[68:69], v[70:71], off offset:2816
	v_add_co_u32_e32 v70, vcc, s0, v50
	global_store_dwordx2 v[82:83], v[92:93], off offset:1408
	v_pk_add_f32 v[92:93], v[94:95], v[108:109] neg_lo:[0,1] neg_hi:[0,1]
	v_addc_co_u32_e32 v71, vcc, 0, v51, vcc
	global_store_dwordx2 v[70:71], v[92:93], off offset:3520
	s_waitcnt vmcnt(6)
	v_pk_mul_f32 v[92:93], v[102:103], v[74:75] op_sel_hi:[1,0]
	v_add_co_u32_e32 v78, vcc, s12, v78
	v_pk_fma_f32 v[106:107], v[42:43], v[102:103], v[92:93] op_sel:[0,0,1] op_sel_hi:[1,1,0]
	v_pk_fma_f32 v[92:93], v[42:43], v[102:103], v[92:93] op_sel:[0,0,1] op_sel_hi:[0,1,0] neg_lo:[1,0,0] neg_hi:[1,0,0]
	v_mov_b32_e32 v107, v93
	v_pk_mul_f32 v[92:93], v[98:99], v[72:73] op_sel_hi:[1,0]
	v_addc_co_u32_e32 v79, vcc, 0, v79, vcc
	v_pk_fma_f32 v[102:103], v[40:41], v[98:99], v[92:93] op_sel:[0,0,1] op_sel_hi:[1,1,0]
	v_pk_fma_f32 v[92:93], v[40:41], v[98:99], v[92:93] op_sel:[0,0,1] op_sel_hi:[0,1,0] neg_lo:[1,0,0] neg_hi:[1,0,0]
	v_mov_b32_e32 v103, v93
	global_load_dwordx4 v[92:95], v[78:79], off offset:624
	v_mov_b32_e32 v0, v105
	v_pk_mul_f32 v[78:79], v[96:97], v[0:1] op_sel_hi:[1,0]
	v_mov_b32_e32 v0, v61
	v_pk_fma_f32 v[104:105], v[0:1], v[96:97], v[78:79] op_sel:[0,0,1] op_sel_hi:[1,1,0]
	v_pk_fma_f32 v[60:61], v[0:1], v[96:97], v[78:79] op_sel:[0,0,1] op_sel_hi:[0,1,0] neg_lo:[1,0,0] neg_hi:[1,0,0]
	global_load_dwordx2 v[78:79], v[88:89], off offset:32
	global_load_dwordx4 v[96:99], v[88:89], off offset:16
	v_mov_b32_e32 v0, v87
	v_mov_b32_e32 v105, v61
	v_pk_mul_f32 v[60:61], v[116:117], v[0:1] op_sel_hi:[1,0]
	v_mov_b32_e32 v0, v59
	v_pk_fma_f32 v[86:87], v[0:1], v[116:117], v[60:61] op_sel:[0,0,1] op_sel_hi:[1,1,0]
	v_pk_fma_f32 v[58:59], v[0:1], v[116:117], v[60:61] op_sel:[0,0,1] op_sel_hi:[0,1,0] neg_lo:[1,0,0] neg_hi:[1,0,0]
	v_mov_b32_e32 v0, v85
	v_pk_mul_f32 v[60:61], v[100:101], v[0:1] op_sel_hi:[1,0]
	v_mov_b32_e32 v0, v57
	v_pk_fma_f32 v[56:57], v[0:1], v[100:101], v[60:61] op_sel:[0,0,1] op_sel_hi:[0,1,0]
	v_pk_fma_f32 v[60:61], v[0:1], v[100:101], v[60:61] op_sel:[0,0,1] op_sel_hi:[0,1,0] neg_lo:[1,0,0] neg_hi:[1,0,0]
	v_mov_b32_e32 v57, v61
	v_mov_b32_e32 v87, v59
	;; [unrolled: 1-line block ×3, first 2 shown]
	v_pk_add_f32 v[52:53], v[80:81], v[106:107]
	v_pk_add_f32 v[56:57], v[56:57], v[104:105]
	;; [unrolled: 1-line block ×5, first 2 shown]
	v_fmac_f32_e32 v0, -0.5, v58
	v_pk_add_f32 v[84:85], v[104:105], v[86:87] neg_lo:[0,1] neg_hi:[0,1]
	v_fmac_f32_e32 v61, -0.5, v59
	v_pk_add_f32 v[58:59], v[52:53], v[56:57]
	v_fmamk_f32 v42, v84, 0xbf5db3d7, v61
	v_fmac_f32_e32 v61, 0x3f5db3d7, v84
	global_store_dwordx2 v[50:51], v[58:59], off offset:960
	v_pk_add_f32 v[58:59], v[106:107], v[102:103]
	v_mov_b32_e32 v60, v61
	v_pk_fma_f32 v[58:59], v[58:59], 0.5, v[80:81] op_sel_hi:[1,0,1] neg_lo:[1,0,0] neg_hi:[1,0,0]
	v_pk_add_f32 v[80:81], v[106:107], v[102:103] neg_lo:[0,1] neg_hi:[0,1]
	v_fmamk_f32 v40, v85, 0x3f5db3d7, v0
	v_fmac_f32_e32 v0, 0xbf5db3d7, v85
	v_pk_mul_f32 v[80:81], v[80:81], s[6:7] op_sel_hi:[1,0]
	v_pk_mul_f32 v[60:61], v[60:61], s[6:7] op_sel_hi:[0,1]
	v_pk_add_f32 v[84:85], v[58:59], v[80:81] op_sel:[0,1] op_sel_hi:[1,0] neg_lo:[0,1] neg_hi:[0,1]
	v_pk_add_f32 v[58:59], v[58:59], v[80:81] op_sel:[0,1] op_sel_hi:[1,0]
	v_pk_fma_f32 v[86:87], v[0:1], s[8:9], v[60:61] neg_lo:[0,0,1] neg_hi:[0,0,1]
	v_pk_fma_f32 v[60:61], v[0:1], s[8:9], v[60:61] op_sel_hi:[0,1,1]
	v_or_b32_e32 v0, 0x780, v8
	v_mov_b32_e32 v80, v84
	v_mov_b32_e32 v81, v59
	;; [unrolled: 1-line block ×3, first 2 shown]
	v_lshl_add_u64 v[8:9], v[0:1], 3, v[10:11]
	v_pk_add_f32 v[10:11], v[52:53], v[56:57] neg_lo:[0,1] neg_hi:[0,1]
	v_pk_add_f32 v[60:61], v[80:81], v[86:87]
	global_store_dwordx2 v[8:9], v[10:11], off
	v_pk_add_f32 v[8:9], v[80:81], v[86:87] neg_lo:[0,1] neg_hi:[0,1]
	global_store_dwordx2 v[64:65], v[60:61], off offset:1664
	v_pk_mul_f32 v[60:61], v[42:43], s[6:7] op_sel_hi:[0,1]
	global_store_dwordx2 v[68:69], v[8:9], off offset:3776
	v_add_co_u32_e32 v8, vcc, s12, v62
	v_pk_fma_f32 v[60:61], v[40:41], s[2:3], v[60:61] op_sel_hi:[0,1,1] neg_lo:[0,0,1] neg_hi:[0,0,1]
	v_mov_b32_e32 v59, v85
	v_addc_co_u32_e32 v9, vcc, 0, v63, vcc
	v_pk_add_f32 v[84:85], v[58:59], v[60:61]
	v_pk_add_f32 v[10:11], v[58:59], v[60:61] neg_lo:[0,1] neg_hi:[0,1]
	global_load_dwordx4 v[56:59], v[8:9], off offset:624
	s_movk_i32 s0, 0x6000
	v_add_co_u32_e32 v8, vcc, s0, v50
	global_store_dwordx2 v[82:83], v[84:85], off offset:2368
	s_nop 0
	v_addc_co_u32_e32 v9, vcc, 0, v51, vcc
	global_load_dwordx2 v[52:53], v[76:77], off offset:32
	global_load_dwordx4 v[60:63], v[76:77], off offset:16
	v_mov_b32_e32 v0, v43
	global_store_dwordx2 v[8:9], v[10:11], off offset:384
	v_mov_b32_e32 v10, v75
	v_add_co_u32_e32 v36, vcc, s12, v36
	s_mov_b32 s0, 0x1b4e81b5
	s_nop 0
	v_addc_co_u32_e32 v37, vcc, 0, v37, vcc
	s_waitcnt vmcnt(11)
	v_pk_mul_f32 v[10:11], v[94:95], v[10:11] op_sel_hi:[1,0]
	v_pk_mul_f32 v[76:77], v[92:93], v[44:45] op_sel_hi:[1,0]
	v_pk_fma_f32 v[74:75], v[0:1], v[94:95], v[10:11] op_sel:[0,0,1] op_sel_hi:[1,1,0]
	v_pk_fma_f32 v[10:11], v[0:1], v[94:95], v[10:11] op_sel:[0,0,1] op_sel_hi:[0,1,0] neg_lo:[1,0,0] neg_hi:[1,0,0]
	v_mov_b32_e32 v10, v73
	v_mov_b32_e32 v75, v11
	;; [unrolled: 1-line block ×3, first 2 shown]
	s_waitcnt vmcnt(9)
	v_pk_mul_f32 v[10:11], v[98:99], v[10:11] op_sel_hi:[1,0]
	s_nop 0
	v_pk_fma_f32 v[42:43], v[0:1], v[98:99], v[10:11] op_sel:[0,0,1] op_sel_hi:[1,1,0]
	v_pk_fma_f32 v[10:11], v[0:1], v[98:99], v[10:11] op_sel:[0,0,1] op_sel_hi:[0,1,0] neg_lo:[1,0,0] neg_hi:[1,0,0]
	v_mov_b32_e32 v43, v11
	v_pk_mul_f32 v[10:11], v[96:97], v[48:49] op_sel_hi:[1,0]
	s_nop 0
	v_pk_fma_f32 v[40:41], v[24:25], v[96:97], v[10:11] op_sel:[0,0,1] op_sel_hi:[1,1,0]
	v_pk_fma_f32 v[10:11], v[24:25], v[96:97], v[10:11] op_sel:[0,0,1] op_sel_hi:[0,1,0] neg_lo:[1,0,0] neg_hi:[1,0,0]
	v_mov_b32_e32 v41, v11
	;; [unrolled: 5-line block ×3, first 2 shown]
	v_pk_fma_f32 v[78:79], v[20:21], v[92:93], v[76:77] op_sel:[0,0,1] op_sel_hi:[0,1,0]
	v_pk_add_f32 v[10:11], v[40:41], v[72:73]
	v_pk_fma_f32 v[76:77], v[20:21], v[92:93], v[76:77] op_sel:[0,0,1] op_sel_hi:[0,1,0] neg_lo:[1,0,0] neg_hi:[1,0,0]
	v_mov_b32_e32 v0, v78
	v_mov_b32_e32 v79, v77
	v_fmac_f32_e32 v0, -0.5, v10
	v_pk_add_f32 v[80:81], v[40:41], v[72:73] neg_lo:[0,1] neg_hi:[0,1]
	v_fmac_f32_e32 v77, -0.5, v11
	v_fmamk_f32 v10, v81, 0x3f5db3d7, v0
	v_fmamk_f32 v20, v80, 0xbf5db3d7, v77
	v_fmac_f32_e32 v0, 0xbf5db3d7, v81
	v_fmac_f32_e32 v77, 0x3f5db3d7, v80
	s_waitcnt lgkmcnt(0)
	v_pk_add_f32 v[80:81], v[38:39], v[74:75]
	v_pk_add_f32 v[40:41], v[78:79], v[40:41]
	;; [unrolled: 1-line block ×4, first 2 shown]
	v_mov_b32_e32 v22, v77
	v_pk_add_f32 v[72:73], v[80:81], v[40:41]
	global_store_dwordx2 v[50:51], v[72:73], off offset:1920
	v_pk_add_f32 v[72:73], v[74:75], v[42:43]
	v_pk_add_f32 v[42:43], v[74:75], v[42:43] neg_lo:[0,1] neg_hi:[0,1]
	v_pk_fma_f32 v[38:39], v[72:73], 0.5, v[38:39] op_sel_hi:[1,0,1] neg_lo:[1,0,0] neg_hi:[1,0,0]
	v_pk_mul_f32 v[42:43], v[42:43], s[6:7] op_sel_hi:[1,0]
	v_pk_mul_f32 v[74:75], v[22:23], s[6:7] op_sel_hi:[0,1]
	v_pk_add_f32 v[72:73], v[38:39], v[42:43] op_sel:[0,1] op_sel_hi:[1,0] neg_lo:[0,1] neg_hi:[0,1]
	v_pk_add_f32 v[38:39], v[38:39], v[42:43] op_sel:[0,1] op_sel_hi:[1,0]
	v_pk_fma_f32 v[76:77], v[0:1], s[8:9], v[74:75] neg_lo:[0,0,1] neg_hi:[0,0,1]
	v_pk_fma_f32 v[74:75], v[0:1], s[8:9], v[74:75] op_sel_hi:[0,1,1]
	v_mov_b32_e32 v42, v72
	v_mov_b32_e32 v43, v39
	;; [unrolled: 1-line block ×3, first 2 shown]
	v_pk_add_f32 v[74:75], v[42:43], v[76:77]
	global_store_dwordx2 v[64:65], v[74:75], off offset:2624
	v_pk_mul_f32 v[74:75], v[20:21], s[6:7] op_sel_hi:[0,1]
	v_pk_fma_f32 v[10:11], v[10:11], s[2:3], v[74:75] op_sel_hi:[0,1,1] neg_lo:[0,0,1] neg_hi:[0,0,1]
	v_mov_b32_e32 v39, v73
	v_pk_add_f32 v[72:73], v[38:39], v[10:11]
	v_pk_add_f32 v[40:41], v[80:81], v[40:41] neg_lo:[0,1] neg_hi:[0,1]
	v_pk_add_f32 v[10:11], v[38:39], v[10:11] neg_lo:[0,1] neg_hi:[0,1]
	global_load_dwordx4 v[36:39], v[36:37], off offset:624
	v_mov_b32_e32 v0, v49
	global_store_dwordx2 v[66:67], v[40:41], off offset:4032
	v_pk_add_f32 v[40:41], v[42:43], v[76:77] neg_lo:[0,1] neg_hi:[0,1]
	global_store_dwordx2 v[8:9], v[10:11], off offset:1344
	s_waitcnt vmcnt(9)
	v_pk_mul_f32 v[10:11], v[58:59], v[34:35] op_sel_hi:[1,0]
	global_store_dwordx2 v[82:83], v[72:73], off offset:3328
	global_store_dwordx2 v[70:71], v[40:41], off offset:640
	v_pk_fma_f32 v[72:73], v[16:17], v[58:59], v[10:11] op_sel:[0,0,1] op_sel_hi:[1,1,0]
	v_pk_fma_f32 v[10:11], v[16:17], v[58:59], v[10:11] op_sel:[0,0,1] op_sel_hi:[0,1,0] neg_lo:[1,0,0] neg_hi:[1,0,0]
	v_mov_b32_e32 v73, v11
	global_load_dwordx2 v[10:11], v[54:55], off offset:32
	global_load_dwordx4 v[40:43], v[54:55], off offset:16
	s_waitcnt vmcnt(10)
	v_pk_mul_f32 v[54:55], v[62:63], v[32:33] op_sel_hi:[1,0]
	v_pk_mul_f32 v[48:49], v[60:61], v[0:1] op_sel_hi:[1,0]
	v_pk_fma_f32 v[58:59], v[14:15], v[62:63], v[54:55] op_sel:[0,0,1] op_sel_hi:[1,1,0]
	v_pk_fma_f32 v[54:55], v[14:15], v[62:63], v[54:55] op_sel:[0,0,1] op_sel_hi:[0,1,0] neg_lo:[1,0,0] neg_hi:[1,0,0]
	v_mov_b32_e32 v0, v25
	v_mov_b32_e32 v59, v55
	v_pk_fma_f32 v[54:55], v[0:1], v[60:61], v[48:49] op_sel:[0,0,1] op_sel_hi:[1,1,0]
	v_pk_fma_f32 v[24:25], v[0:1], v[60:61], v[48:49] op_sel:[0,0,1] op_sel_hi:[0,1,0] neg_lo:[1,0,0] neg_hi:[1,0,0]
	v_mov_b32_e32 v0, v47
	v_mov_b32_e32 v55, v25
	v_pk_mul_f32 v[24:25], v[52:53], v[0:1] op_sel_hi:[1,0]
	v_mov_b32_e32 v0, v23
	v_pk_fma_f32 v[46:47], v[0:1], v[52:53], v[24:25] op_sel:[0,0,1] op_sel_hi:[1,1,0]
	v_pk_fma_f32 v[22:23], v[0:1], v[52:53], v[24:25] op_sel:[0,0,1] op_sel_hi:[0,1,0] neg_lo:[1,0,0] neg_hi:[1,0,0]
	v_mov_b32_e32 v0, v45
	v_pk_mul_f32 v[24:25], v[56:57], v[0:1] op_sel_hi:[1,0]
	v_mov_b32_e32 v0, v21
	v_mov_b32_e32 v47, v23
	v_pk_fma_f32 v[20:21], v[0:1], v[56:57], v[24:25] op_sel:[0,0,1] op_sel_hi:[0,1,0]
	v_pk_fma_f32 v[24:25], v[0:1], v[56:57], v[24:25] op_sel:[0,0,1] op_sel_hi:[0,1,0] neg_lo:[1,0,0] neg_hi:[1,0,0]
	v_pk_add_f32 v[22:23], v[54:55], v[46:47]
	v_mov_b32_e32 v21, v25
	v_mov_b32_e32 v0, v20
	v_fmac_f32_e32 v0, -0.5, v22
	v_fmac_f32_e32 v25, -0.5, v23
	v_pk_add_f32 v[22:23], v[18:19], v[72:73]
	v_pk_add_f32 v[20:21], v[20:21], v[54:55]
	v_pk_add_f32 v[44:45], v[54:55], v[46:47] neg_lo:[0,1] neg_hi:[0,1]
	v_pk_add_f32 v[22:23], v[22:23], v[58:59]
	v_pk_add_f32 v[20:21], v[20:21], v[46:47]
	v_fmamk_f32 v14, v45, 0x3f5db3d7, v0
	v_fmamk_f32 v16, v44, 0xbf5db3d7, v25
	v_fmac_f32_e32 v0, 0xbf5db3d7, v45
	v_fmac_f32_e32 v25, 0x3f5db3d7, v44
	v_pk_add_f32 v[44:45], v[22:23], v[20:21]
	global_store_dwordx2 v[50:51], v[44:45], off offset:2880
	v_pk_add_f32 v[44:45], v[72:73], v[58:59]
	v_mov_b32_e32 v24, v25
	v_pk_fma_f32 v[18:19], v[44:45], 0.5, v[18:19] op_sel_hi:[1,0,1] neg_lo:[1,0,0] neg_hi:[1,0,0]
	v_pk_add_f32 v[44:45], v[72:73], v[58:59] neg_lo:[0,1] neg_hi:[0,1]
	v_pk_mul_f32 v[24:25], v[24:25], s[6:7] op_sel_hi:[0,1]
	v_pk_mul_f32 v[44:45], v[44:45], s[6:7] op_sel_hi:[1,0]
	v_pk_fma_f32 v[48:49], v[0:1], s[8:9], v[24:25] neg_lo:[0,0,1] neg_hi:[0,0,1]
	v_pk_add_f32 v[46:47], v[18:19], v[44:45] op_sel:[0,1] op_sel_hi:[1,0] neg_lo:[0,1] neg_hi:[0,1]
	v_pk_add_f32 v[18:19], v[18:19], v[44:45] op_sel:[0,1] op_sel_hi:[1,0]
	v_pk_fma_f32 v[24:25], v[0:1], s[8:9], v[24:25] op_sel_hi:[0,1,1]
	v_mov_b32_e32 v44, v46
	v_mov_b32_e32 v45, v19
	;; [unrolled: 1-line block ×3, first 2 shown]
	v_pk_add_f32 v[24:25], v[44:45], v[48:49]
	global_store_dwordx2 v[64:65], v[24:25], off offset:3584
	v_pk_mul_f32 v[24:25], v[16:17], s[6:7] op_sel_hi:[0,1]
	v_pk_fma_f32 v[24:25], v[14:15], s[2:3], v[24:25] op_sel_hi:[0,1,1] neg_lo:[0,0,1] neg_hi:[0,0,1]
	v_mov_b32_e32 v19, v47
	v_pk_add_f32 v[46:47], v[18:19], v[24:25]
	v_pk_add_f32 v[18:19], v[18:19], v[24:25] neg_lo:[0,1] neg_hi:[0,1]
	v_mov_b32_e32 v14, v35
	global_store_dwordx2 v[8:9], v[18:19], off offset:2304
	v_mov_b32_e32 v8, v17
	v_pk_add_f32 v[20:21], v[22:23], v[20:21] neg_lo:[0,1] neg_hi:[0,1]
	global_store_dwordx2 v[68:69], v[20:21], off offset:896
	v_pk_add_f32 v[20:21], v[44:45], v[48:49] neg_lo:[0,1] neg_hi:[0,1]
	v_mul_hi_u32 v0, v90, s0
	global_store_dwordx2 v[70:71], v[20:21], off offset:1600
	v_lshrrev_b32_e32 v0, 6, v0
	v_mul_u32_u24_e32 v0, 0xbb8, v0
	v_lshl_add_u64 v[0:1], v[0:1], 3, v[50:51]
	global_store_dwordx2 v[66:67], v[46:47], off offset:192
	s_waitcnt vmcnt(12)
	v_pk_mul_f32 v[18:19], v[38:39], v[14:15] op_sel_hi:[1,0]
	v_mov_b32_e32 v14, v17
	v_pk_fma_f32 v[16:17], v[14:15], v[38:39], v[18:19] op_sel:[0,0,1] op_sel_hi:[0,1,0] neg_lo:[1,0,0] neg_hi:[1,0,0]
	v_pk_fma_f32 v[8:9], v[8:9], v[38:39], v[18:19] op_sel:[0,0,1] op_sel_hi:[1,1,0]
	v_mov_b32_e32 v16, v33
	v_mov_b32_e32 v9, v17
	;; [unrolled: 1-line block ×3, first 2 shown]
	s_waitcnt vmcnt(6)
	v_pk_mul_f32 v[16:17], v[42:43], v[16:17] op_sel_hi:[1,0]
	s_nop 0
	v_pk_fma_f32 v[18:19], v[14:15], v[42:43], v[16:17] op_sel:[0,0,1] op_sel_hi:[1,1,0]
	v_pk_fma_f32 v[14:15], v[14:15], v[42:43], v[16:17] op_sel:[0,0,1] op_sel_hi:[0,1,0] neg_lo:[1,0,0] neg_hi:[1,0,0]
	v_mov_b32_e32 v19, v15
	v_pk_mul_f32 v[14:15], v[40:41], v[30:31] op_sel_hi:[1,0]
	s_nop 0
	v_pk_fma_f32 v[16:17], v[6:7], v[40:41], v[14:15] op_sel:[0,0,1] op_sel_hi:[1,1,0]
	v_pk_fma_f32 v[6:7], v[6:7], v[40:41], v[14:15] op_sel:[0,0,1] op_sel_hi:[0,1,0] neg_lo:[1,0,0] neg_hi:[1,0,0]
	v_mov_b32_e32 v17, v7
	v_pk_mul_f32 v[6:7], v[10:11], v[28:29] op_sel_hi:[1,0]
	s_nop 0
	v_pk_fma_f32 v[14:15], v[12:13], v[10:11], v[6:7] op_sel:[0,0,1] op_sel_hi:[1,1,0]
	v_pk_fma_f32 v[6:7], v[12:13], v[10:11], v[6:7] op_sel:[0,0,1] op_sel_hi:[0,1,0] neg_lo:[1,0,0] neg_hi:[1,0,0]
	v_pk_mul_f32 v[10:11], v[36:37], v[26:27] op_sel_hi:[1,0]
	v_mov_b32_e32 v15, v7
	v_pk_fma_f32 v[12:13], v[2:3], v[36:37], v[10:11] op_sel:[0,0,1] op_sel_hi:[0,1,0]
	v_pk_fma_f32 v[2:3], v[2:3], v[36:37], v[10:11] op_sel:[0,0,1] op_sel_hi:[0,1,0] neg_lo:[1,0,0] neg_hi:[1,0,0]
	v_pk_add_f32 v[6:7], v[16:17], v[14:15]
	v_mov_b32_e32 v2, v12
	v_mov_b32_e32 v13, v3
	v_fmac_f32_e32 v2, -0.5, v6
	v_pk_add_f32 v[10:11], v[16:17], v[14:15] neg_lo:[0,1] neg_hi:[0,1]
	v_fmac_f32_e32 v3, -0.5, v7
	v_fmamk_f32 v6, v11, 0x3f5db3d7, v2
	v_fmamk_f32 v20, v10, 0xbf5db3d7, v3
	v_fmac_f32_e32 v2, 0xbf5db3d7, v11
	v_fmac_f32_e32 v3, 0x3f5db3d7, v10
	v_pk_add_f32 v[10:11], v[4:5], v[8:9]
	v_pk_add_f32 v[12:13], v[12:13], v[16:17]
	;; [unrolled: 1-line block ×4, first 2 shown]
	s_nop 0
	v_pk_add_f32 v[14:15], v[10:11], v[12:13]
	global_store_dwordx2 v[0:1], v[14:15], off offset:3840
	v_pk_add_f32 v[14:15], v[8:9], v[18:19]
	v_pk_add_f32 v[8:9], v[8:9], v[18:19] neg_lo:[0,1] neg_hi:[0,1]
	v_pk_fma_f32 v[4:5], v[14:15], 0.5, v[4:5] op_sel_hi:[1,0,1] neg_lo:[1,0,0] neg_hi:[1,0,0]
	v_pk_mul_f32 v[8:9], v[8:9], s[6:7] op_sel_hi:[1,0]
	s_nop 0
	v_pk_add_f32 v[14:15], v[4:5], v[8:9] op_sel:[0,1] op_sel_hi:[1,0] neg_lo:[0,1] neg_hi:[0,1]
	v_pk_add_f32 v[4:5], v[4:5], v[8:9] op_sel:[0,1] op_sel_hi:[1,0]
	v_mov_b32_e32 v8, v14
	v_mov_b32_e32 v14, v3
	v_pk_mul_f32 v[16:17], v[14:15], s[6:7] op_sel_hi:[0,1]
	v_pk_fma_f32 v[18:19], v[2:3], s[8:9], v[16:17] neg_lo:[0,0,1] neg_hi:[0,0,1]
	v_pk_fma_f32 v[2:3], v[2:3], s[8:9], v[16:17] op_sel_hi:[0,1,1]
	v_mov_b32_e32 v9, v5
	v_mov_b32_e32 v19, v3
	v_add_co_u32_e32 v16, vcc, s11, v0
	v_pk_add_f32 v[2:3], v[8:9], v[18:19]
	s_nop 0
	v_addc_co_u32_e32 v17, vcc, 0, v1, vcc
	global_store_dwordx2 v[16:17], v[2:3], off offset:448
	v_pk_mul_f32 v[2:3], v[20:21], s[6:7] op_sel_hi:[0,1]
	v_pk_fma_f32 v[2:3], v[6:7], s[2:3], v[2:3] op_sel_hi:[0,1,1] neg_lo:[0,0,1] neg_hi:[0,0,1]
	v_mov_b32_e32 v5, v15
	v_add_co_u32_e32 v14, vcc, s10, v0
	v_pk_add_f32 v[6:7], v[4:5], v[2:3]
	s_nop 0
	v_addc_co_u32_e32 v15, vcc, 0, v1, vcc
	global_store_dwordx2 v[14:15], v[6:7], off offset:1152
	v_pk_add_f32 v[6:7], v[10:11], v[12:13] neg_lo:[0,1] neg_hi:[0,1]
	v_add_co_u32_e32 v10, vcc, 0x4000, v0
	v_pk_add_f32 v[2:3], v[4:5], v[2:3] neg_lo:[0,1] neg_hi:[0,1]
	s_nop 0
	v_addc_co_u32_e32 v11, vcc, 0, v1, vcc
	global_store_dwordx2 v[10:11], v[6:7], off offset:1856
	v_pk_add_f32 v[6:7], v[8:9], v[18:19] neg_lo:[0,1] neg_hi:[0,1]
	v_add_co_u32_e32 v8, vcc, 0x5000, v0
	s_nop 1
	v_addc_co_u32_e32 v9, vcc, 0, v1, vcc
	v_add_co_u32_e32 v0, vcc, 0x6000, v0
	global_store_dwordx2 v[8:9], v[6:7], off offset:2560
	s_nop 0
	v_addc_co_u32_e32 v1, vcc, 0, v1, vcc
	global_store_dwordx2 v[0:1], v[2:3], off offset:3264
.LBB0_13:
	s_endpgm
	.section	.rodata,"a",@progbits
	.p2align	6, 0x0
	.amdhsa_kernel fft_rtc_back_len3600_factors_10_10_6_6_wgs_120_tpt_120_halfLds_sp_ip_CI_unitstride_sbrr_dirReg
		.amdhsa_group_segment_fixed_size 0
		.amdhsa_private_segment_fixed_size 0
		.amdhsa_kernarg_size 88
		.amdhsa_user_sgpr_count 2
		.amdhsa_user_sgpr_dispatch_ptr 0
		.amdhsa_user_sgpr_queue_ptr 0
		.amdhsa_user_sgpr_kernarg_segment_ptr 1
		.amdhsa_user_sgpr_dispatch_id 0
		.amdhsa_user_sgpr_kernarg_preload_length 0
		.amdhsa_user_sgpr_kernarg_preload_offset 0
		.amdhsa_user_sgpr_private_segment_size 0
		.amdhsa_uses_dynamic_stack 0
		.amdhsa_enable_private_segment 0
		.amdhsa_system_sgpr_workgroup_id_x 1
		.amdhsa_system_sgpr_workgroup_id_y 0
		.amdhsa_system_sgpr_workgroup_id_z 0
		.amdhsa_system_sgpr_workgroup_info 0
		.amdhsa_system_vgpr_workitem_id 0
		.amdhsa_next_free_vgpr 141
		.amdhsa_next_free_sgpr 22
		.amdhsa_accum_offset 144
		.amdhsa_reserve_vcc 1
		.amdhsa_float_round_mode_32 0
		.amdhsa_float_round_mode_16_64 0
		.amdhsa_float_denorm_mode_32 3
		.amdhsa_float_denorm_mode_16_64 3
		.amdhsa_dx10_clamp 1
		.amdhsa_ieee_mode 1
		.amdhsa_fp16_overflow 0
		.amdhsa_tg_split 0
		.amdhsa_exception_fp_ieee_invalid_op 0
		.amdhsa_exception_fp_denorm_src 0
		.amdhsa_exception_fp_ieee_div_zero 0
		.amdhsa_exception_fp_ieee_overflow 0
		.amdhsa_exception_fp_ieee_underflow 0
		.amdhsa_exception_fp_ieee_inexact 0
		.amdhsa_exception_int_div_zero 0
	.end_amdhsa_kernel
	.text
.Lfunc_end0:
	.size	fft_rtc_back_len3600_factors_10_10_6_6_wgs_120_tpt_120_halfLds_sp_ip_CI_unitstride_sbrr_dirReg, .Lfunc_end0-fft_rtc_back_len3600_factors_10_10_6_6_wgs_120_tpt_120_halfLds_sp_ip_CI_unitstride_sbrr_dirReg
                                        ; -- End function
	.section	.AMDGPU.csdata,"",@progbits
; Kernel info:
; codeLenInByte = 15820
; NumSgprs: 28
; NumVgprs: 141
; NumAgprs: 0
; TotalNumVgprs: 141
; ScratchSize: 0
; MemoryBound: 0
; FloatMode: 240
; IeeeMode: 1
; LDSByteSize: 0 bytes/workgroup (compile time only)
; SGPRBlocks: 3
; VGPRBlocks: 17
; NumSGPRsForWavesPerEU: 28
; NumVGPRsForWavesPerEU: 141
; AccumOffset: 144
; Occupancy: 3
; WaveLimiterHint : 1
; COMPUTE_PGM_RSRC2:SCRATCH_EN: 0
; COMPUTE_PGM_RSRC2:USER_SGPR: 2
; COMPUTE_PGM_RSRC2:TRAP_HANDLER: 0
; COMPUTE_PGM_RSRC2:TGID_X_EN: 1
; COMPUTE_PGM_RSRC2:TGID_Y_EN: 0
; COMPUTE_PGM_RSRC2:TGID_Z_EN: 0
; COMPUTE_PGM_RSRC2:TIDIG_COMP_CNT: 0
; COMPUTE_PGM_RSRC3_GFX90A:ACCUM_OFFSET: 35
; COMPUTE_PGM_RSRC3_GFX90A:TG_SPLIT: 0
	.text
	.p2alignl 6, 3212836864
	.fill 256, 4, 3212836864
	.type	__hip_cuid_1db7efdbd5368771,@object ; @__hip_cuid_1db7efdbd5368771
	.section	.bss,"aw",@nobits
	.globl	__hip_cuid_1db7efdbd5368771
__hip_cuid_1db7efdbd5368771:
	.byte	0                               ; 0x0
	.size	__hip_cuid_1db7efdbd5368771, 1

	.ident	"AMD clang version 19.0.0git (https://github.com/RadeonOpenCompute/llvm-project roc-6.4.0 25133 c7fe45cf4b819c5991fe208aaa96edf142730f1d)"
	.section	".note.GNU-stack","",@progbits
	.addrsig
	.addrsig_sym __hip_cuid_1db7efdbd5368771
	.amdgpu_metadata
---
amdhsa.kernels:
  - .agpr_count:     0
    .args:
      - .actual_access:  read_only
        .address_space:  global
        .offset:         0
        .size:           8
        .value_kind:     global_buffer
      - .offset:         8
        .size:           8
        .value_kind:     by_value
      - .actual_access:  read_only
        .address_space:  global
        .offset:         16
        .size:           8
        .value_kind:     global_buffer
      - .actual_access:  read_only
        .address_space:  global
        .offset:         24
        .size:           8
        .value_kind:     global_buffer
      - .offset:         32
        .size:           8
        .value_kind:     by_value
      - .actual_access:  read_only
        .address_space:  global
        .offset:         40
        .size:           8
        .value_kind:     global_buffer
      - .actual_access:  read_only
        .address_space:  global
        .offset:         48
        .size:           8
        .value_kind:     global_buffer
      - .offset:         56
        .size:           4
        .value_kind:     by_value
      - .actual_access:  read_only
        .address_space:  global
        .offset:         64
        .size:           8
        .value_kind:     global_buffer
      - .actual_access:  read_only
        .address_space:  global
        .offset:         72
        .size:           8
        .value_kind:     global_buffer
      - .address_space:  global
        .offset:         80
        .size:           8
        .value_kind:     global_buffer
    .group_segment_fixed_size: 0
    .kernarg_segment_align: 8
    .kernarg_segment_size: 88
    .language:       OpenCL C
    .language_version:
      - 2
      - 0
    .max_flat_workgroup_size: 120
    .name:           fft_rtc_back_len3600_factors_10_10_6_6_wgs_120_tpt_120_halfLds_sp_ip_CI_unitstride_sbrr_dirReg
    .private_segment_fixed_size: 0
    .sgpr_count:     28
    .sgpr_spill_count: 0
    .symbol:         fft_rtc_back_len3600_factors_10_10_6_6_wgs_120_tpt_120_halfLds_sp_ip_CI_unitstride_sbrr_dirReg.kd
    .uniform_work_group_size: 1
    .uses_dynamic_stack: false
    .vgpr_count:     141
    .vgpr_spill_count: 0
    .wavefront_size: 64
amdhsa.target:   amdgcn-amd-amdhsa--gfx950
amdhsa.version:
  - 1
  - 2
...

	.end_amdgpu_metadata
